;; amdgpu-corpus repo=ROCm/rocFFT kind=compiled arch=gfx950 opt=O3
	.text
	.amdgcn_target "amdgcn-amd-amdhsa--gfx950"
	.amdhsa_code_object_version 6
	.protected	bluestein_single_fwd_len2880_dim1_dp_op_CI_CI ; -- Begin function bluestein_single_fwd_len2880_dim1_dp_op_CI_CI
	.globl	bluestein_single_fwd_len2880_dim1_dp_op_CI_CI
	.p2align	8
	.type	bluestein_single_fwd_len2880_dim1_dp_op_CI_CI,@function
bluestein_single_fwd_len2880_dim1_dp_op_CI_CI: ; @bluestein_single_fwd_len2880_dim1_dp_op_CI_CI
; %bb.0:
	s_load_dwordx4 s[12:15], s[0:1], 0x28
	v_mul_u32_u24_e32 v1, 0x2ab, v0
	v_add_u32_sdwa v240, s2, v1 dst_sel:DWORD dst_unused:UNUSED_PAD src0_sel:DWORD src1_sel:WORD_1
	v_mov_b32_e32 v241, 0
	s_waitcnt lgkmcnt(0)
	v_cmp_gt_u64_e32 vcc, s[12:13], v[240:241]
	s_and_saveexec_b64 s[2:3], vcc
	s_cbranch_execz .LBB0_2
; %bb.1:
	s_load_dwordx4 s[4:7], s[0:1], 0x0
	s_load_dwordx4 s[8:11], s[0:1], 0x18
	s_load_dwordx2 s[2:3], s[0:1], 0x38
	s_movk_i32 s0, 0x60
	v_mul_lo_u16_sdwa v1, v1, s0 dst_sel:DWORD dst_unused:UNUSED_PAD src0_sel:WORD_1 src1_sel:DWORD
	s_mov_b32 s0, 0
	v_mov_b32_e32 v179, s0
	s_waitcnt lgkmcnt(0)
	v_mov_b32_e32 v4, s2
	v_mov_b32_e32 v5, s3
	s_load_dwordx4 s[0:3], s[10:11], 0x0
	scratch_store_dwordx2 off, v[4:5], off offset:516 ; 8-byte Folded Spill
	v_sub_u16_e32 v178, v0, v1
	v_mov_b32_e32 v2, s14
	v_mov_b32_e32 v3, s15
	s_waitcnt lgkmcnt(0)
	v_mad_u64_u32 v[4:5], s[10:11], s2, v240, 0
	s_load_dwordx4 s[8:11], s[8:9], 0x0
	v_mov_b32_e32 v0, v5
	v_mad_u64_u32 v[0:1], s[2:3], s3, v240, v[0:1]
	v_mov_b32_e32 v5, v0
	s_waitcnt lgkmcnt(0)
	v_mad_u64_u32 v[0:1], s[2:3], s10, v240, 0
	scratch_store_dwordx2 off, v[4:5], off offset:632 ; 8-byte Folded Spill
	v_mov_b32_e32 v4, v1
	v_mad_u64_u32 v[4:5], s[2:3], s11, v240, v[4:5]
	v_mad_u64_u32 v[6:7], s[2:3], s8, v178, 0
	v_mov_b32_e32 v1, v4
	v_mov_b32_e32 v4, v7
	v_mad_u64_u32 v[4:5], s[2:3], s9, v178, v[4:5]
	v_mov_b32_e32 v7, v4
	v_lshl_add_u64 v[4:5], v[0:1], 4, v[2:3]
	v_lshl_add_u64 v[2:3], v[6:7], 4, v[4:5]
	v_lshlrev_b32_e32 v240, 4, v178
	global_load_dwordx4 v[6:9], v[2:3], off
	global_load_dwordx4 v[12:15], v240, s[4:5]
	s_mov_b64 s[2:3], 0x120
	v_lshl_add_u64 v[0:1], s[4:5], 0, v[240:241]
	v_lshl_add_u64 v[128:129], v[178:179], 0, s[2:3]
	s_movk_i32 s26, 0x1000
	v_mov_b32_e32 v29, 0x1200
	s_movk_i32 s27, 0x2000
	s_movk_i32 s31, 0x3000
	;; [unrolled: 1-line block ×5, first 2 shown]
	v_mov_b32_e32 v28, 0x2400
	s_mov_b32 s36, 0xa000
	s_add_u32 s24, s4, 0xb400
	s_addc_u32 s25, s5, 0
	s_movk_i32 s28, 0x4000
	s_mov_b32 s29, 0x8000
	s_mov_b32 s30, 0x9000
	;; [unrolled: 1-line block ×8, first 2 shown]
	s_movk_i32 s22, 0xcd
	s_movk_i32 s37, 0x50
	s_mov_b32 s23, 0xbfebb67a
	s_movk_i32 s38, 0x89
	v_add_u32_e32 v124, 0x360, v178
	v_add_u32_e32 v180, 0x3c0, v178
	;; [unrolled: 1-line block ×3, first 2 shown]
	s_waitcnt vmcnt(0)
	scratch_store_dwordx4 off, v[12:15], off offset:84 ; 16-byte Folded Spill
	v_mul_f64 v[10:11], v[8:9], v[14:15]
	v_fmac_f64_e32 v[10:11], v[6:7], v[12:13]
	v_mul_f64 v[6:7], v[6:7], v[14:15]
	v_fma_f64 v[12:13], v[8:9], v[12:13], -v[6:7]
	v_mov_b32_e32 v6, 0x1200
	v_mad_u64_u32 v[2:3], s[2:3], s8, v6, v[2:3]
	s_mul_i32 s2, s9, 0x1200
	v_add_co_u32_e32 v8, vcc, s26, v0
	v_add_u32_e32 v3, s2, v3
	s_nop 0
	v_addc_co_u32_e32 v9, vcc, 0, v1, vcc
	ds_write_b128 v240, v[10:13]
	global_load_dwordx4 v[10:13], v[2:3], off
	global_load_dwordx4 v[16:19], v[8:9], off offset:512
	s_mul_i32 s3, s9, 0x2400
	s_waitcnt vmcnt(0)
	scratch_store_dwordx4 off, v[16:19], off offset:148 ; 16-byte Folded Spill
	v_mul_f64 v[14:15], v[12:13], v[18:19]
	v_mul_f64 v[6:7], v[10:11], v[18:19]
	v_fmac_f64_e32 v[14:15], v[10:11], v[16:17]
	v_fma_f64 v[16:17], v[12:13], v[16:17], -v[6:7]
	v_mad_u64_u32 v[6:7], s[10:11], s8, v29, v[2:3]
	v_add_co_u32_e32 v2, vcc, s27, v0
	v_add_u32_e32 v7, s2, v7
	s_nop 0
	v_addc_co_u32_e32 v3, vcc, 0, v1, vcc
	ds_write_b128 v240, v[14:17] offset:4608
	global_load_dwordx4 v[10:13], v[6:7], off
	global_load_dwordx4 v[16:19], v[2:3], off offset:1024
	v_mad_u64_u32 v[6:7], s[10:11], s8, v29, v[6:7]
	v_add_u32_e32 v7, s2, v7
                                        ; kill: killed $vgpr2 killed $vgpr3
	s_waitcnt vmcnt(0)
	v_mul_f64 v[14:15], v[12:13], v[18:19]
	v_fmac_f64_e32 v[14:15], v[10:11], v[16:17]
	v_mul_f64 v[10:11], v[10:11], v[18:19]
	scratch_store_dwordx4 off, v[16:19], off offset:276 ; 16-byte Folded Spill
	s_nop 1
	v_fma_f64 v[16:17], v[12:13], v[16:17], -v[10:11]
	ds_write_b128 v240, v[14:17] offset:9216
	v_add_co_u32_e32 v14, vcc, s31, v0
	global_load_dwordx4 v[10:13], v[6:7], off
	s_nop 0
	v_addc_co_u32_e32 v15, vcc, 0, v1, vcc
	global_load_dwordx4 v[18:21], v[14:15], off offset:1536
                                        ; kill: killed $vgpr14 killed $vgpr15
	s_waitcnt vmcnt(0)
	v_mul_f64 v[16:17], v[12:13], v[20:21]
	v_fmac_f64_e32 v[16:17], v[10:11], v[18:19]
	v_mul_f64 v[10:11], v[10:11], v[20:21]
	scratch_store_dwordx4 off, v[18:21], off offset:340 ; 16-byte Folded Spill
	s_nop 1
	v_fma_f64 v[18:19], v[12:13], v[18:19], -v[10:11]
	ds_write_b128 v240, v[16:19] offset:13824
	v_or_b32_e32 v16, 0x480, v178
	v_mad_u64_u32 v[10:11], s[10:11], s8, v16, 0
	v_mov_b32_e32 v12, v11
	v_mad_u64_u32 v[12:13], s[10:11], s9, v16, v[12:13]
	v_mov_b32_e32 v190, v16
	v_mov_b32_e32 v11, v12
	v_lshl_add_u64 v[10:11], v[10:11], 4, v[4:5]
	v_lshlrev_b32_e32 v250, 4, v190
	global_load_dwordx4 v[10:13], v[10:11], off
	s_nop 0
	global_load_dwordx4 v[18:21], v250, s[4:5]
	s_waitcnt vmcnt(0)
	v_mul_f64 v[16:17], v[12:13], v[20:21]
	v_fmac_f64_e32 v[16:17], v[10:11], v[18:19]
	v_mul_f64 v[10:11], v[10:11], v[20:21]
	scratch_store_dwordx4 off, v[18:21], off offset:380 ; 16-byte Folded Spill
	s_nop 1
	v_fma_f64 v[18:19], v[12:13], v[18:19], -v[10:11]
	v_mov_b32_e32 v10, 0x2400
	v_mad_u64_u32 v[6:7], s[10:11], s8, v10, v[6:7]
	v_add_co_u32_e32 v12, vcc, s33, v0
	v_add_u32_e32 v7, s3, v7
	s_nop 0
	v_addc_co_u32_e32 v13, vcc, 0, v1, vcc
	global_load_dwordx4 v[22:25], v[12:13], off offset:2560
	ds_write_b128 v240, v[16:19] offset:18432
	global_load_dwordx4 v[16:19], v[6:7], off
	v_mad_u64_u32 v[6:7], s[10:11], s8, v29, v[6:7]
	v_add_u32_e32 v7, s2, v7
	s_waitcnt vmcnt(1)
	scratch_store_dwordx4 off, v[22:25], off offset:416 ; 16-byte Folded Spill
	s_waitcnt vmcnt(1)
	v_mul_f64 v[20:21], v[18:19], v[24:25]
	v_mul_f64 v[10:11], v[16:17], v[24:25]
	v_fmac_f64_e32 v[20:21], v[16:17], v[22:23]
	v_fma_f64 v[22:23], v[18:19], v[22:23], -v[10:11]
	v_add_co_u32_e32 v10, vcc, s34, v0
	ds_write_b128 v240, v[20:23] offset:23040
	s_nop 0
	v_addc_co_u32_e32 v11, vcc, 0, v1, vcc
	global_load_dwordx4 v[16:19], v[6:7], off
	global_load_dwordx4 v[22:25], v[10:11], off offset:3072
	v_mad_u64_u32 v[6:7], s[10:11], s8, v29, v[6:7]
	v_add_u32_e32 v7, s2, v7
	s_waitcnt vmcnt(0)
	v_mul_f64 v[20:21], v[18:19], v[24:25]
	v_fmac_f64_e32 v[20:21], v[16:17], v[22:23]
	v_mul_f64 v[16:17], v[16:17], v[24:25]
	scratch_store_dwordx4 off, v[22:25], off offset:448 ; 16-byte Folded Spill
	s_nop 1
	v_fma_f64 v[22:23], v[18:19], v[22:23], -v[16:17]
	v_add_co_u32_e32 v16, vcc, s35, v0
	ds_write_b128 v240, v[20:23] offset:27648
	s_nop 0
	v_addc_co_u32_e32 v17, vcc, 0, v1, vcc
	global_load_dwordx4 v[18:21], v[6:7], off
	global_load_dwordx4 v[24:27], v[16:17], off offset:3584
                                        ; kill: killed $vgpr16 killed $vgpr17
	s_waitcnt vmcnt(0)
	v_mul_f64 v[22:23], v[20:21], v[26:27]
	v_fmac_f64_e32 v[22:23], v[18:19], v[24:25]
	v_mul_f64 v[18:19], v[18:19], v[26:27]
	scratch_store_dwordx4 off, v[24:27], off offset:464 ; 16-byte Folded Spill
	s_nop 1
	v_fma_f64 v[24:25], v[20:21], v[24:25], -v[18:19]
	ds_write_b128 v240, v[22:25] offset:32256
	v_or_b32_e32 v22, 0x900, v178
	v_mad_u64_u32 v[18:19], s[10:11], s8, v22, 0
	v_mov_b32_e32 v20, v19
	v_mad_u64_u32 v[20:21], s[10:11], s9, v22, v[20:21]
	v_mov_b32_e32 v19, v20
	v_lshl_add_u64 v[18:19], v[18:19], 4, v[4:5]
	v_lshlrev_b32_e32 v252, 4, v22
	global_load_dwordx4 v[18:21], v[18:19], off
	s_nop 0
	global_load_dwordx4 v[24:27], v252, s[4:5]
	s_nop 0
	scratch_store_dword off, v22, off offset:300 ; 4-byte Folded Spill
	s_waitcnt vmcnt(1)
	v_mul_f64 v[22:23], v[20:21], v[26:27]
	scratch_store_dwordx4 off, v[24:27], off offset:480 ; 16-byte Folded Spill
	v_fmac_f64_e32 v[22:23], v[18:19], v[24:25]
	v_mul_f64 v[18:19], v[18:19], v[26:27]
	v_mad_u64_u32 v[26:27], s[10:11], s8, v28, v[6:7]
	v_add_co_u32_e32 v6, vcc, s36, v0
	v_add_u32_e32 v27, s3, v27
	s_nop 0
	v_addc_co_u32_e32 v7, vcc, 0, v1, vcc
	v_fma_f64 v[24:25], v[20:21], v[24:25], -v[18:19]
	global_load_dwordx4 v[18:21], v[26:27], off
	global_load_dwordx4 v[30:33], v[6:7], off offset:512
	ds_write_b128 v240, v[22:25] offset:36864
	s_mov_b64 s[10:11], 0x60
	v_lshl_add_u64 v[132:133], v[178:179], 0, s[10:11]
	s_waitcnt vmcnt(0)
	v_mul_f64 v[22:23], v[20:21], v[32:33]
	v_fmac_f64_e32 v[22:23], v[18:19], v[30:31]
	v_mul_f64 v[18:19], v[18:19], v[32:33]
	v_fma_f64 v[24:25], v[20:21], v[30:31], -v[18:19]
	v_mov_b32_e32 v18, 0xffff6400
	v_mad_u64_u32 v[26:27], s[10:11], s8, v18, v[26:27]
	s_mul_i32 s10, s9, 0xffff6400
	s_sub_i32 s10, s10, s8
	scratch_store_dwordx4 off, v[30:33], off offset:500 ; 16-byte Folded Spill
	ds_write_b128 v240, v[22:25] offset:41472
	v_add_u32_e32 v27, s10, v27
	global_load_dwordx4 v[18:21], v[26:27], off
	global_load_dwordx4 v[30:33], v240, s[4:5] offset:1536
	s_waitcnt vmcnt(0)
	v_mul_f64 v[22:23], v[20:21], v[32:33]
	v_fmac_f64_e32 v[22:23], v[18:19], v[30:31]
	v_mul_f64 v[18:19], v[18:19], v[32:33]
	v_fma_f64 v[24:25], v[20:21], v[30:31], -v[18:19]
	ds_write_b128 v240, v[22:25] offset:1536
	v_or_b32_e32 v22, 0x180, v178
	v_mad_u64_u32 v[18:19], s[10:11], s8, v22, 0
	v_mov_b32_e32 v20, v19
	v_mad_u64_u32 v[20:21], s[10:11], s9, v22, v[20:21]
	v_mov_b32_e32 v185, v22
	v_mov_b32_e32 v19, v20
	v_lshl_add_u64 v[18:19], v[18:19], 4, v[4:5]
	v_lshlrev_b32_e32 v251, 4, v185
	scratch_store_dwordx4 off, v[30:33], off offset:20 ; 16-byte Folded Spill
	global_load_dwordx4 v[18:21], v[18:19], off
	s_mov_b64 s[10:11], 0x2a0
	global_load_dwordx4 v[30:33], v251, s[4:5]
	v_lshl_add_u64 v[126:127], v[178:179], 0, s[10:11]
	v_mad_u64_u32 v[26:27], s[10:11], s8, v28, v[26:27]
	v_add_u32_e32 v27, s3, v27
	s_waitcnt vmcnt(0)
	v_mul_f64 v[22:23], v[20:21], v[32:33]
	v_fmac_f64_e32 v[22:23], v[18:19], v[30:31]
	v_mul_f64 v[18:19], v[18:19], v[32:33]
	v_fma_f64 v[24:25], v[20:21], v[30:31], -v[18:19]
	scratch_store_dwordx4 off, v[30:33], off offset:100 ; 16-byte Folded Spill
	ds_write_b128 v240, v[22:25] offset:6144
	global_load_dwordx4 v[18:21], v[26:27], off
	global_load_dwordx4 v[30:33], v[2:3], off offset:2560
	s_waitcnt vmcnt(0)
	v_mul_f64 v[22:23], v[20:21], v[32:33]
	v_mul_f64 v[2:3], v[18:19], v[32:33]
	v_fmac_f64_e32 v[22:23], v[18:19], v[30:31]
	v_fma_f64 v[24:25], v[20:21], v[30:31], -v[2:3]
	v_mad_u64_u32 v[2:3], s[10:11], s8, v29, v[26:27]
	scratch_store_dwordx4 off, v[30:33], off offset:132 ; 16-byte Folded Spill
	ds_write_b128 v240, v[22:25] offset:10752
	v_add_u32_e32 v3, s2, v3
	global_load_dwordx4 v[18:21], v[2:3], off
	global_load_dwordx4 v[24:27], v[14:15], off offset:3072
	v_mad_u64_u32 v[2:3], s[10:11], s8, v29, v[2:3]
	v_add_u32_e32 v3, s2, v3
	s_waitcnt vmcnt(0)
	v_mul_f64 v[22:23], v[20:21], v[26:27]
	v_fmac_f64_e32 v[22:23], v[18:19], v[24:25]
	v_mul_f64 v[14:15], v[18:19], v[26:27]
	v_add_co_u32_e32 v18, vcc, s28, v0
	scratch_store_dwordx4 off, v[24:27], off offset:180 ; 16-byte Folded Spill
	s_nop 0
	v_addc_co_u32_e32 v19, vcc, 0, v1, vcc
	v_fma_f64 v[24:25], v[20:21], v[24:25], -v[14:15]
	ds_write_b128 v240, v[22:25] offset:15360
	global_load_dwordx4 v[20:23], v[2:3], off
	global_load_dwordx4 v[30:33], v[18:19], off offset:3584
	v_mad_u64_u32 v[2:3], s[10:11], s8, v28, v[2:3]
	v_add_u32_e32 v3, s3, v3
	s_waitcnt vmcnt(0)
	v_mul_f64 v[24:25], v[22:23], v[32:33]
	v_mul_f64 v[14:15], v[20:21], v[32:33]
	v_fmac_f64_e32 v[24:25], v[20:21], v[30:31]
	v_fma_f64 v[26:27], v[22:23], v[30:31], -v[14:15]
	ds_write_b128 v240, v[24:27] offset:19968
	v_or_b32_e32 v24, 0x600, v178
	v_mad_u64_u32 v[14:15], s[10:11], s8, v24, 0
	v_mov_b32_e32 v20, v15
	v_mad_u64_u32 v[20:21], s[10:11], s9, v24, v[20:21]
	v_mov_b32_e32 v15, v20
	v_lshl_add_u64 v[14:15], v[14:15], 4, v[4:5]
	v_lshlrev_b32_e32 v254, 4, v24
	scratch_store_dwordx4 off, v[30:33], off offset:196 ; 16-byte Folded Spill
	global_load_dwordx4 v[20:23], v[14:15], off
	s_nop 0
	global_load_dwordx4 v[30:33], v254, s[4:5]
	s_waitcnt vmcnt(0)
	v_mul_f64 v[14:15], v[20:21], v[32:33]
	scratch_store_dword off, v24, off offset:292 ; 4-byte Folded Spill
	v_mul_f64 v[24:25], v[22:23], v[32:33]
	v_fmac_f64_e32 v[24:25], v[20:21], v[30:31]
	v_fma_f64 v[26:27], v[22:23], v[30:31], -v[14:15]
	scratch_store_dwordx4 off, v[30:33], off offset:244 ; 16-byte Folded Spill
	ds_write_b128 v240, v[24:27] offset:24576
	global_load_dwordx4 v[20:23], v[2:3], off
	global_load_dwordx4 v[24:27], v[16:17], off offset:512
	v_mad_u64_u32 v[2:3], s[10:11], s8, v29, v[2:3]
	v_add_u32_e32 v3, s2, v3
	s_waitcnt vmcnt(0)
	v_mul_f64 v[14:15], v[22:23], v[26:27]
	v_mul_f64 v[16:17], v[20:21], v[26:27]
	v_fmac_f64_e32 v[14:15], v[20:21], v[24:25]
	v_fma_f64 v[16:17], v[22:23], v[24:25], -v[16:17]
	ds_write_b128 v240, v[14:17] offset:29184
	v_add_co_u32_e32 v16, vcc, s29, v0
	global_load_dwordx4 v[20:23], v[2:3], off
	s_nop 0
	v_addc_co_u32_e32 v17, vcc, 0, v1, vcc
	global_load_dwordx4 v[30:33], v[16:17], off offset:1024
	s_waitcnt vmcnt(0)
	v_mul_f64 v[14:15], v[20:21], v[32:33]
	scratch_store_dwordx4 off, v[24:27], off offset:212 ; 16-byte Folded Spill
	scratch_store_dwordx4 off, v[30:33], off offset:228 ; 16-byte Folded Spill
	s_nop 0
	v_mul_f64 v[24:25], v[22:23], v[32:33]
	v_fmac_f64_e32 v[24:25], v[20:21], v[30:31]
	v_fma_f64 v[26:27], v[22:23], v[30:31], -v[14:15]
	ds_write_b128 v240, v[24:27] offset:33792
	v_mad_u64_u32 v[24:25], s[10:11], s8, v29, v[2:3]
	v_add_co_u32_e32 v14, vcc, s30, v0
	v_add_u32_e32 v25, s2, v25
	s_nop 0
	v_addc_co_u32_e32 v15, vcc, 0, v1, vcc
	global_load_dwordx4 v[20:23], v[24:25], off
	global_load_dwordx4 v[30:33], v[14:15], off offset:1536
	v_cmp_gt_u16_e32 vcc, 60, v178
	s_waitcnt vmcnt(0)
	v_mul_f64 v[0:1], v[22:23], v[32:33]
	v_mul_f64 v[2:3], v[20:21], v[32:33]
	v_fmac_f64_e32 v[0:1], v[20:21], v[30:31]
	v_fma_f64 v[2:3], v[22:23], v[30:31], -v[2:3]
	v_or_b32_e32 v20, 0xa80, v178
	ds_write_b128 v240, v[0:3] offset:38400
	v_mad_u64_u32 v[0:1], s[10:11], s8, v20, 0
	v_mov_b32_e32 v2, v1
	v_mad_u64_u32 v[2:3], s[10:11], s9, v20, v[2:3]
	v_mov_b32_e32 v1, v2
	v_lshl_add_u64 v[0:1], v[0:1], 4, v[4:5]
	v_lshlrev_b32_e32 v249, 4, v20
	scratch_store_dwordx4 off, v[30:33], off offset:260 ; 16-byte Folded Spill
	global_load_dwordx4 v[0:3], v[0:1], off
	s_mov_b64 s[10:11], 0xc0
	global_load_dwordx4 v[30:33], v249, s[4:5]
	v_lshl_add_u64 v[134:135], v[178:179], 0, s[10:11]
	scratch_store_dword off, v20, off offset:16 ; 4-byte Folded Spill
	s_waitcnt vmcnt(1)
	v_mul_f64 v[20:21], v[2:3], v[32:33]
	v_fmac_f64_e32 v[20:21], v[0:1], v[30:31]
	v_mul_f64 v[0:1], v[0:1], v[32:33]
	v_fma_f64 v[22:23], v[2:3], v[30:31], -v[0:1]
	v_mov_b32_e32 v0, 0xffff7600
	v_mad_u64_u32 v[24:25], s[10:11], s8, v0, v[24:25]
	s_mul_i32 s10, s9, 0xffff7600
	s_sub_i32 s10, s10, s8
	scratch_store_dwordx4 off, v[30:33], off offset:308 ; 16-byte Folded Spill
	ds_write_b128 v240, v[20:23] offset:43008
	v_add_u32_e32 v25, s10, v25
	global_load_dwordx4 v[0:3], v[24:25], off
	global_load_dwordx4 v[30:33], v240, s[4:5] offset:3072
	s_waitcnt vmcnt(0)
	v_mul_f64 v[20:21], v[2:3], v[32:33]
	v_fmac_f64_e32 v[20:21], v[0:1], v[30:31]
	v_mul_f64 v[0:1], v[0:1], v[32:33]
	v_fma_f64 v[22:23], v[2:3], v[30:31], -v[0:1]
	ds_write_b128 v240, v[20:23] offset:3072
	v_mad_u64_u32 v[20:21], s[10:11], s8, v29, v[24:25]
	scratch_store_dwordx4 off, v[30:33], off ; 16-byte Folded Spill
	v_add_u32_e32 v21, s2, v21
	global_load_dwordx4 v[0:3], v[20:21], off
	global_load_dwordx4 v[24:27], v[8:9], off offset:3584
	v_or_b32_e32 v8, 0x300, v178
	v_lshlrev_b32_e32 v255, 4, v8
	v_mov_b32_e32 v189, v8
	s_waitcnt vmcnt(0)
	v_mul_f64 v[22:23], v[2:3], v[26:27]
	v_fmac_f64_e32 v[22:23], v[0:1], v[24:25]
	v_mul_f64 v[0:1], v[0:1], v[26:27]
	scratch_store_dwordx4 off, v[24:27], off offset:324 ; 16-byte Folded Spill
	s_nop 1
	v_fma_f64 v[24:25], v[2:3], v[24:25], -v[0:1]
	v_mad_u64_u32 v[0:1], s[10:11], s8, v8, 0
	v_mov_b32_e32 v2, v1
	v_mad_u64_u32 v[2:3], s[10:11], s9, v8, v[2:3]
	v_mov_b32_e32 v1, v2
	v_lshl_add_u64 v[0:1], v[0:1], 4, v[4:5]
	ds_write_b128 v240, v[22:25] offset:7680
	global_load_dwordx4 v[0:3], v[0:1], off
	s_mov_b64 s[10:11], 0x420
	global_load_dwordx4 v[24:27], v255, s[4:5]
	v_lshl_add_u64 v[130:131], v[178:179], 0, s[10:11]
	v_mad_u64_u32 v[8:9], s[10:11], s8, v28, v[20:21]
	v_add_u32_e32 v9, s3, v9
	v_add_u32_e32 v131, 0x540, v178
	s_waitcnt vmcnt(0)
	v_mul_f64 v[22:23], v[2:3], v[26:27]
	v_fmac_f64_e32 v[22:23], v[0:1], v[24:25]
	v_mul_f64 v[0:1], v[0:1], v[26:27]
	scratch_store_dwordx4 off, v[24:27], off offset:68 ; 16-byte Folded Spill
	s_nop 1
	v_fma_f64 v[24:25], v[2:3], v[24:25], -v[0:1]
	ds_write_b128 v240, v[22:25] offset:12288
	global_load_dwordx4 v[0:3], v[8:9], off
	global_load_dwordx4 v[20:23], v[18:19], off offset:512
	v_mad_u64_u32 v[8:9], s[10:11], s8, v29, v[8:9]
	v_add_u32_e32 v9, s2, v9
	s_waitcnt vmcnt(0)
	v_mul_f64 v[18:19], v[2:3], v[22:23]
	v_fmac_f64_e32 v[18:19], v[0:1], v[20:21]
	v_mul_f64 v[0:1], v[0:1], v[22:23]
	scratch_store_dwordx4 off, v[20:23], off offset:52 ; 16-byte Folded Spill
	s_nop 1
	v_fma_f64 v[20:21], v[2:3], v[20:21], -v[0:1]
	ds_write_b128 v240, v[18:21] offset:16896
	global_load_dwordx4 v[0:3], v[8:9], off
	global_load_dwordx4 v[20:23], v[12:13], off offset:1024
	s_waitcnt vmcnt(0)
	v_mul_f64 v[18:19], v[2:3], v[22:23]
	v_fmac_f64_e32 v[18:19], v[0:1], v[20:21]
	v_mul_f64 v[0:1], v[0:1], v[22:23]
	scratch_store_dwordx4 off, v[20:23], off offset:116 ; 16-byte Folded Spill
	s_nop 1
	v_fma_f64 v[20:21], v[2:3], v[20:21], -v[0:1]
	v_mad_u64_u32 v[0:1], s[10:11], s8, v29, v[8:9]
	ds_write_b128 v240, v[18:21] offset:21504
	v_add_u32_e32 v1, s2, v1
	global_load_dwordx4 v[18:21], v[0:1], off
	s_nop 0
	global_load_dwordx4 v[10:13], v[10:11], off offset:1536
	s_waitcnt vmcnt(0)
	v_mul_f64 v[8:9], v[20:21], v[12:13]
	v_mul_f64 v[2:3], v[18:19], v[12:13]
	scratch_store_dwordx4 off, v[10:13], off offset:164 ; 16-byte Folded Spill
	v_fmac_f64_e32 v[8:9], v[18:19], v[10:11]
	s_nop 0
	v_fma_f64 v[10:11], v[20:21], v[10:11], -v[2:3]
	ds_write_b128 v240, v[8:11] offset:26112
	v_or_b32_e32 v10, 0x780, v178
	v_mad_u64_u32 v[2:3], s[10:11], s8, v10, 0
	v_mov_b32_e32 v8, v3
	v_mad_u64_u32 v[8:9], s[10:11], s9, v10, v[8:9]
	v_mov_b32_e32 v3, v8
	v_lshl_add_u64 v[2:3], v[2:3], 4, v[4:5]
	v_lshlrev_b32_e32 v253, 4, v10
	scratch_store_dword off, v10, off offset:296 ; 4-byte Folded Spill
	global_load_dwordx4 v[2:5], v[2:3], off
	s_mov_b32 s11, 0xbfee6f0e
	global_load_dwordx4 v[10:13], v253, s[4:5]
	s_waitcnt vmcnt(0)
	v_mul_f64 v[8:9], v[4:5], v[12:13]
	v_fmac_f64_e32 v[8:9], v[2:3], v[10:11]
	v_mul_f64 v[2:3], v[2:3], v[12:13]
	scratch_store_dwordx4 off, v[10:13], off offset:400 ; 16-byte Folded Spill
	s_nop 1
	v_fma_f64 v[10:11], v[4:5], v[10:11], -v[2:3]
	v_mad_u64_u32 v[4:5], s[4:5], s8, v28, v[0:1]
	ds_write_b128 v240, v[8:11] offset:30720
	v_add_u32_e32 v5, s3, v5
	global_load_dwordx4 v[0:3], v[4:5], off
	global_load_dwordx4 v[10:13], v[16:17], off offset:2560
	v_mad_u64_u32 v[4:5], s[4:5], s8, v29, v[4:5]
	v_add_u32_e32 v5, s2, v5
	s_waitcnt vmcnt(0)
	v_mul_f64 v[8:9], v[2:3], v[12:13]
	v_fmac_f64_e32 v[8:9], v[0:1], v[10:11]
	v_mul_f64 v[0:1], v[0:1], v[12:13]
	scratch_store_dwordx4 off, v[10:13], off offset:432 ; 16-byte Folded Spill
	s_nop 1
	v_fma_f64 v[10:11], v[2:3], v[10:11], -v[0:1]
	ds_write_b128 v240, v[8:11] offset:35328
	global_load_dwordx4 v[0:3], v[4:5], off
	global_load_dwordx4 v[10:13], v[14:15], off offset:3072
	s_waitcnt vmcnt(0)
	v_mul_f64 v[8:9], v[2:3], v[12:13]
	v_fmac_f64_e32 v[8:9], v[0:1], v[10:11]
	v_mul_f64 v[0:1], v[0:1], v[12:13]
	scratch_store_dwordx4 off, v[10:13], off offset:356 ; 16-byte Folded Spill
	s_nop 1
	v_fma_f64 v[10:11], v[2:3], v[10:11], -v[0:1]
	v_mad_u64_u32 v[0:1], s[4:5], s8, v29, v[4:5]
	ds_write_b128 v240, v[8:11] offset:39936
	v_add_u32_e32 v1, s2, v1
	global_load_dwordx4 v[0:3], v[0:1], off
	s_nop 0
	global_load_dwordx4 v[4:7], v[6:7], off offset:3584
	s_mov_b32 s4, 0x134454ff
	s_mov_b32 s5, 0x3fee6f0e
	;; [unrolled: 1-line block ×9, first 2 shown]
	s_waitcnt vmcnt(0)
	v_mov_b64_e32 v[8:9], v[6:7]
	v_mov_b64_e32 v[6:7], v[4:5]
	v_mul_f64 v[4:5], v[2:3], v[8:9]
	v_fmac_f64_e32 v[4:5], v[0:1], v[6:7]
	v_mul_f64 v[0:1], v[0:1], v[8:9]
	scratch_store_dwordx4 off, v[6:9], off offset:36 ; 16-byte Folded Spill
	s_nop 1
	v_fma_f64 v[6:7], v[2:3], v[6:7], -v[0:1]
	ds_write_b128 v240, v[4:7] offset:44544
	s_waitcnt lgkmcnt(0)
	s_barrier
	ds_read_b128 v[32:35], v240
	ds_read_b128 v[18:21], v240 offset:4608
	ds_read_b128 v[22:25], v240 offset:9216
	;; [unrolled: 1-line block ×29, first 2 shown]
	s_waitcnt lgkmcnt(14)
	v_add_f64 v[16:17], v[32:33], v[22:23]
	v_add_f64 v[16:17], v[16:17], v[26:27]
	;; [unrolled: 1-line block ×5, first 2 shown]
	v_fma_f64 v[30:31], -0.5, v[16:17], v[32:33]
	v_add_f64 v[16:17], v[24:25], -v[122:123]
	v_fma_f64 v[138:139], s[4:5], v[16:17], v[30:31]
	v_add_f64 v[140:141], v[28:29], -v[38:39]
	v_add_f64 v[142:143], v[22:23], -v[26:27]
	v_add_f64 v[144:145], v[120:121], -v[36:37]
	v_fmac_f64_e32 v[30:31], s[10:11], v[16:17]
	v_fmac_f64_e32 v[138:139], s[2:3], v[140:141]
	v_add_f64 v[142:143], v[142:143], v[144:145]
	v_fmac_f64_e32 v[30:31], s[12:13], v[140:141]
	v_fmac_f64_e32 v[138:139], s[8:9], v[142:143]
	v_fmac_f64_e32 v[30:31], s[8:9], v[142:143]
	v_add_f64 v[142:143], v[22:23], v[120:121]
	v_fmac_f64_e32 v[32:33], -0.5, v[142:143]
	v_fma_f64 v[144:145], s[10:11], v[140:141], v[32:33]
	v_fmac_f64_e32 v[32:33], s[4:5], v[140:141]
	v_fmac_f64_e32 v[144:145], s[2:3], v[16:17]
	v_fmac_f64_e32 v[32:33], s[12:13], v[16:17]
	v_add_f64 v[16:17], v[34:35], v[24:25]
	v_add_f64 v[142:143], v[26:27], -v[22:23]
	v_add_f64 v[146:147], v[36:37], -v[120:121]
	v_add_f64 v[16:17], v[16:17], v[28:29]
	v_add_f64 v[142:143], v[142:143], v[146:147]
	v_add_f64 v[16:17], v[16:17], v[38:39]
	v_fmac_f64_e32 v[144:145], s[8:9], v[142:143]
	v_fmac_f64_e32 v[32:33], s[8:9], v[142:143]
	v_add_f64 v[142:143], v[16:17], v[122:123]
	v_add_f64 v[16:17], v[28:29], v[38:39]
	v_fma_f64 v[140:141], -0.5, v[16:17], v[34:35]
	v_add_f64 v[16:17], v[22:23], -v[120:121]
	v_fma_f64 v[22:23], s[10:11], v[16:17], v[140:141]
	v_add_f64 v[26:27], v[26:27], -v[36:37]
	v_add_f64 v[36:37], v[24:25], -v[28:29]
	v_add_f64 v[120:121], v[122:123], -v[38:39]
	v_fmac_f64_e32 v[140:141], s[4:5], v[16:17]
	v_fmac_f64_e32 v[22:23], s[12:13], v[26:27]
	v_add_f64 v[36:37], v[36:37], v[120:121]
	v_fmac_f64_e32 v[140:141], s[2:3], v[26:27]
	v_fmac_f64_e32 v[22:23], s[8:9], v[36:37]
	v_fmac_f64_e32 v[140:141], s[8:9], v[36:37]
	v_add_f64 v[36:37], v[24:25], v[122:123]
	v_fmac_f64_e32 v[34:35], -0.5, v[36:37]
	v_fma_f64 v[120:121], s[4:5], v[26:27], v[34:35]
	v_fmac_f64_e32 v[34:35], s[10:11], v[26:27]
	v_fmac_f64_e32 v[120:121], s[12:13], v[16:17]
	v_fmac_f64_e32 v[34:35], s[2:3], v[16:17]
	v_add_f64 v[16:17], v[18:19], v[0:1]
	v_add_f64 v[24:25], v[28:29], -v[24:25]
	v_add_f64 v[28:29], v[38:39], -v[122:123]
	v_add_f64 v[16:17], v[16:17], v[4:5]
	v_add_f64 v[24:25], v[24:25], v[28:29]
	v_add_f64 v[16:17], v[16:17], v[8:9]
	v_fmac_f64_e32 v[120:121], s[8:9], v[24:25]
	v_fmac_f64_e32 v[34:35], s[8:9], v[24:25]
	v_add_f64 v[24:25], v[16:17], v[12:13]
	v_add_f64 v[16:17], v[4:5], v[8:9]
	;; [unrolled: 28-line block ×3, first 2 shown]
	v_fma_f64 v[36:37], -0.5, v[16:17], v[20:21]
	v_add_f64 v[0:1], v[0:1], -v[12:13]
	v_fma_f64 v[146:147], s[10:11], v[0:1], v[36:37]
	v_add_f64 v[4:5], v[4:5], -v[8:9]
	v_add_f64 v[8:9], v[2:3], -v[6:7]
	;; [unrolled: 1-line block ×3, first 2 shown]
	v_fmac_f64_e32 v[36:37], s[4:5], v[0:1]
	v_fmac_f64_e32 v[146:147], s[12:13], v[4:5]
	v_add_f64 v[8:9], v[8:9], v[12:13]
	v_fmac_f64_e32 v[36:37], s[2:3], v[4:5]
	v_fmac_f64_e32 v[146:147], s[8:9], v[8:9]
	;; [unrolled: 1-line block ×3, first 2 shown]
	v_add_f64 v[8:9], v[2:3], v[14:15]
	v_fmac_f64_e32 v[20:21], -0.5, v[8:9]
	v_fma_f64 v[148:149], s[4:5], v[4:5], v[20:21]
	v_add_f64 v[2:3], v[6:7], -v[2:3]
	v_add_f64 v[6:7], v[10:11], -v[14:15]
	v_fmac_f64_e32 v[148:149], s[12:13], v[0:1]
	v_add_f64 v[2:3], v[2:3], v[6:7]
	v_fmac_f64_e32 v[148:149], s[8:9], v[2:3]
	v_mul_f64 v[152:153], v[148:149], s[4:5]
	v_fmac_f64_e32 v[20:21], s[10:11], v[4:5]
	v_fmac_f64_e32 v[152:153], s[8:9], v[122:123]
	v_mul_f64 v[158:159], v[28:29], s[12:13]
	v_mul_f64 v[122:123], v[122:123], s[10:11]
	v_fmac_f64_e32 v[20:21], s[2:3], v[0:1]
	v_fmac_f64_e32 v[158:159], s[20:21], v[146:147]
	;; [unrolled: 1-line block ×3, first 2 shown]
	v_mul_f64 v[148:149], v[36:37], s[14:15]
	v_fmac_f64_e32 v[20:21], s[8:9], v[2:3]
	v_mul_f64 v[150:151], v[28:29], s[20:21]
	v_mul_f64 v[156:157], v[26:27], s[14:15]
	v_add_f64 v[6:7], v[22:23], v[158:159]
	v_add_f64 v[2:3], v[120:121], v[122:123]
	v_fmac_f64_e32 v[148:149], s[12:13], v[26:27]
	v_add_f64 v[26:27], v[22:23], -v[158:159]
	v_add_f64 v[22:23], v[120:121], -v[122:123]
	v_add_f64 v[120:121], v[84:85], v[80:81]
	v_fmac_f64_e32 v[150:151], s[2:3], v[146:147]
	v_mul_f64 v[154:155], v[18:19], s[18:19]
	v_mul_f64 v[146:147], v[20:21], s[18:19]
	v_add_f64 v[120:121], v[120:121], v[92:93]
	v_fmac_f64_e32 v[154:155], s[4:5], v[20:21]
	v_fmac_f64_e32 v[156:157], s[2:3], v[36:37]
	;; [unrolled: 1-line block ×3, first 2 shown]
	s_waitcnt lgkmcnt(13)
	v_add_f64 v[120:121], v[120:121], v[96:97]
	v_add_f64 v[16:17], v[32:33], v[154:155]
	;; [unrolled: 1-line block ×6, first 2 shown]
	v_add_f64 v[36:37], v[32:33], -v[154:155]
	v_add_f64 v[32:33], v[30:31], -v[156:157]
	;; [unrolled: 1-line block ×5, first 2 shown]
	s_waitcnt lgkmcnt(11)
	v_add_f64 v[140:141], v[120:121], v[100:101]
	v_add_f64 v[120:121], v[92:93], v[96:97]
	v_fma_f64 v[120:121], -0.5, v[120:121], v[84:85]
	v_add_f64 v[122:123], v[82:83], -v[102:103]
	v_add_f64 v[8:9], v[136:137], v[24:25]
	v_add_f64 v[4:5], v[138:139], v[150:151]
	;; [unrolled: 1-line block ×3, first 2 shown]
	v_add_f64 v[28:29], v[136:137], -v[24:25]
	v_add_f64 v[24:25], v[138:139], -v[150:151]
	v_add_f64 v[20:21], v[144:145], -v[152:153]
	v_fma_f64 v[142:143], s[4:5], v[122:123], v[120:121]
	v_add_f64 v[136:137], v[94:95], -v[98:99]
	v_add_f64 v[138:139], v[80:81], -v[92:93]
	;; [unrolled: 1-line block ×3, first 2 shown]
	v_fmac_f64_e32 v[120:121], s[10:11], v[122:123]
	v_fmac_f64_e32 v[142:143], s[2:3], v[136:137]
	v_add_f64 v[138:139], v[138:139], v[144:145]
	v_fmac_f64_e32 v[120:121], s[12:13], v[136:137]
	v_fmac_f64_e32 v[142:143], s[8:9], v[138:139]
	;; [unrolled: 1-line block ×3, first 2 shown]
	v_add_f64 v[138:139], v[80:81], v[100:101]
	v_fmac_f64_e32 v[84:85], -0.5, v[138:139]
	v_fma_f64 v[146:147], s[10:11], v[136:137], v[84:85]
	v_fmac_f64_e32 v[84:85], s[4:5], v[136:137]
	v_fmac_f64_e32 v[146:147], s[2:3], v[122:123]
	;; [unrolled: 1-line block ×3, first 2 shown]
	v_add_f64 v[122:123], v[86:87], v[82:83]
	v_add_f64 v[122:123], v[122:123], v[94:95]
	;; [unrolled: 1-line block ×3, first 2 shown]
	v_add_f64 v[138:139], v[92:93], -v[80:81]
	v_add_f64 v[144:145], v[96:97], -v[100:101]
	v_add_f64 v[136:137], v[122:123], v[102:103]
	v_add_f64 v[122:123], v[94:95], v[98:99]
	;; [unrolled: 1-line block ×3, first 2 shown]
	v_fma_f64 v[122:123], -0.5, v[122:123], v[86:87]
	v_add_f64 v[80:81], v[80:81], -v[100:101]
	v_fmac_f64_e32 v[146:147], s[8:9], v[138:139]
	v_fmac_f64_e32 v[84:85], s[8:9], v[138:139]
	v_fma_f64 v[138:139], s[10:11], v[80:81], v[122:123]
	v_add_f64 v[92:93], v[92:93], -v[96:97]
	v_add_f64 v[96:97], v[82:83], -v[94:95]
	;; [unrolled: 1-line block ×3, first 2 shown]
	v_fmac_f64_e32 v[122:123], s[4:5], v[80:81]
	v_fmac_f64_e32 v[138:139], s[12:13], v[92:93]
	v_add_f64 v[96:97], v[96:97], v[100:101]
	v_fmac_f64_e32 v[122:123], s[2:3], v[92:93]
	v_fmac_f64_e32 v[138:139], s[8:9], v[96:97]
	;; [unrolled: 1-line block ×3, first 2 shown]
	v_add_f64 v[96:97], v[82:83], v[102:103]
	v_fmac_f64_e32 v[86:87], -0.5, v[96:97]
	v_fma_f64 v[144:145], s[4:5], v[92:93], v[86:87]
	v_fmac_f64_e32 v[86:87], s[10:11], v[92:93]
	v_fmac_f64_e32 v[144:145], s[12:13], v[80:81]
	;; [unrolled: 1-line block ×3, first 2 shown]
	v_add_f64 v[80:81], v[88:89], v[64:65]
	v_add_f64 v[80:81], v[80:81], v[68:69]
	;; [unrolled: 1-line block ×3, first 2 shown]
	v_add_f64 v[82:83], v[94:95], -v[82:83]
	v_add_f64 v[94:95], v[98:99], -v[102:103]
	s_waitcnt lgkmcnt(10)
	v_add_f64 v[92:93], v[80:81], v[76:77]
	v_add_f64 v[80:81], v[68:69], v[72:73]
	;; [unrolled: 1-line block ×3, first 2 shown]
	v_fma_f64 v[94:95], -0.5, v[80:81], v[88:89]
	v_add_f64 v[80:81], v[66:67], -v[78:79]
	v_fmac_f64_e32 v[144:145], s[8:9], v[82:83]
	v_fmac_f64_e32 v[86:87], s[8:9], v[82:83]
	v_fma_f64 v[82:83], s[4:5], v[80:81], v[94:95]
	v_add_f64 v[96:97], v[70:71], -v[74:75]
	v_add_f64 v[98:99], v[64:65], -v[68:69]
	;; [unrolled: 1-line block ×3, first 2 shown]
	v_fmac_f64_e32 v[94:95], s[10:11], v[80:81]
	v_fmac_f64_e32 v[82:83], s[2:3], v[96:97]
	v_add_f64 v[98:99], v[98:99], v[100:101]
	v_fmac_f64_e32 v[94:95], s[12:13], v[96:97]
	v_fmac_f64_e32 v[82:83], s[8:9], v[98:99]
	;; [unrolled: 1-line block ×3, first 2 shown]
	v_add_f64 v[98:99], v[64:65], v[76:77]
	v_fmac_f64_e32 v[88:89], -0.5, v[98:99]
	v_fma_f64 v[100:101], s[10:11], v[96:97], v[88:89]
	v_fmac_f64_e32 v[88:89], s[4:5], v[96:97]
	v_fmac_f64_e32 v[100:101], s[2:3], v[80:81]
	;; [unrolled: 1-line block ×3, first 2 shown]
	v_add_f64 v[80:81], v[90:91], v[66:67]
	v_add_f64 v[98:99], v[68:69], -v[64:65]
	v_add_f64 v[102:103], v[72:73], -v[76:77]
	v_add_f64 v[80:81], v[80:81], v[70:71]
	v_add_f64 v[98:99], v[98:99], v[102:103]
	;; [unrolled: 1-line block ×3, first 2 shown]
	v_fmac_f64_e32 v[100:101], s[8:9], v[98:99]
	v_fmac_f64_e32 v[88:89], s[8:9], v[98:99]
	v_add_f64 v[98:99], v[80:81], v[78:79]
	v_add_f64 v[80:81], v[70:71], v[74:75]
	v_fma_f64 v[96:97], -0.5, v[80:81], v[90:91]
	v_add_f64 v[64:65], v[64:65], -v[76:77]
	v_fma_f64 v[102:103], s[10:11], v[64:65], v[96:97]
	v_add_f64 v[68:69], v[68:69], -v[72:73]
	v_add_f64 v[72:73], v[66:67], -v[70:71]
	;; [unrolled: 1-line block ×3, first 2 shown]
	v_fmac_f64_e32 v[96:97], s[4:5], v[64:65]
	v_fmac_f64_e32 v[102:103], s[12:13], v[68:69]
	v_add_f64 v[72:73], v[72:73], v[76:77]
	v_fmac_f64_e32 v[96:97], s[2:3], v[68:69]
	v_fmac_f64_e32 v[102:103], s[8:9], v[72:73]
	v_fmac_f64_e32 v[96:97], s[8:9], v[72:73]
	v_add_f64 v[72:73], v[66:67], v[78:79]
	v_fmac_f64_e32 v[90:91], -0.5, v[72:73]
	v_fma_f64 v[148:149], s[4:5], v[68:69], v[90:91]
	v_add_f64 v[66:67], v[70:71], -v[66:67]
	v_add_f64 v[70:71], v[74:75], -v[78:79]
	v_fmac_f64_e32 v[90:91], s[10:11], v[68:69]
	v_fmac_f64_e32 v[148:149], s[12:13], v[64:65]
	v_add_f64 v[66:67], v[66:67], v[70:71]
	v_fmac_f64_e32 v[90:91], s[2:3], v[64:65]
	v_fmac_f64_e32 v[148:149], s[8:9], v[66:67]
	;; [unrolled: 1-line block ×3, first 2 shown]
	v_mul_f64 v[154:155], v[88:89], s[18:19]
	v_mul_f64 v[156:157], v[94:95], s[14:15]
	;; [unrolled: 1-line block ×4, first 2 shown]
	v_fmac_f64_e32 v[154:155], s[4:5], v[90:91]
	v_fmac_f64_e32 v[156:157], s[2:3], v[96:97]
	v_mul_f64 v[158:159], v[82:83], s[12:13]
	v_fmac_f64_e32 v[150:151], s[2:3], v[102:103]
	v_fmac_f64_e32 v[152:153], s[8:9], v[100:101]
	v_add_f64 v[80:81], v[84:85], v[154:155]
	v_add_f64 v[76:77], v[120:121], v[156:157]
	v_fmac_f64_e32 v[158:159], s[20:21], v[102:103]
	v_mul_f64 v[102:103], v[100:101], s[10:11]
	v_add_f64 v[100:101], v[84:85], -v[154:155]
	v_add_f64 v[84:85], v[120:121], -v[156:157]
	s_waitcnt lgkmcnt(7)
	v_add_f64 v[120:121], v[40:41], v[104:105]
	s_waitcnt lgkmcnt(5)
	v_add_f64 v[120:121], v[120:121], v[108:109]
	;; [unrolled: 2-line block ×3, first 2 shown]
	v_add_f64 v[72:73], v[140:141], v[92:93]
	v_add_f64 v[68:69], v[142:143], v[150:151]
	v_fmac_f64_e32 v[102:103], s[8:9], v[148:149]
	v_mul_f64 v[148:149], v[90:91], s[18:19]
	v_mul_f64 v[160:161], v[96:97], s[14:15]
	v_add_f64 v[96:97], v[140:141], -v[92:93]
	v_add_f64 v[92:93], v[142:143], -v[150:151]
	s_waitcnt lgkmcnt(1)
	v_add_f64 v[142:143], v[120:121], v[116:117]
	v_add_f64 v[120:121], v[108:109], v[112:113]
	;; [unrolled: 1-line block ×3, first 2 shown]
	v_fmac_f64_e32 v[148:149], s[10:11], v[88:89]
	v_fmac_f64_e32 v[160:161], s[12:13], v[94:95]
	v_add_f64 v[98:99], v[136:137], -v[98:99]
	v_fma_f64 v[136:137], -0.5, v[120:121], v[40:41]
	v_add_f64 v[120:121], v[106:107], -v[118:119]
	v_add_f64 v[70:71], v[138:139], v[158:159]
	v_add_f64 v[66:67], v[144:145], v[102:103]
	;; [unrolled: 1-line block ×4, first 2 shown]
	v_add_f64 v[94:95], v[138:139], -v[158:159]
	v_add_f64 v[90:91], v[144:145], -v[102:103]
	v_add_f64 v[102:103], v[86:87], -v[148:149]
	v_add_f64 v[86:87], v[122:123], -v[160:161]
	v_fma_f64 v[144:145], s[4:5], v[120:121], v[136:137]
	v_add_f64 v[122:123], v[110:111], -v[114:115]
	v_add_f64 v[138:139], v[104:105], -v[108:109]
	;; [unrolled: 1-line block ×3, first 2 shown]
	v_fmac_f64_e32 v[136:137], s[10:11], v[120:121]
	v_fmac_f64_e32 v[144:145], s[2:3], v[122:123]
	v_add_f64 v[138:139], v[138:139], v[140:141]
	v_fmac_f64_e32 v[136:137], s[12:13], v[122:123]
	v_fmac_f64_e32 v[144:145], s[8:9], v[138:139]
	;; [unrolled: 1-line block ×3, first 2 shown]
	v_add_f64 v[138:139], v[104:105], v[116:117]
	v_fmac_f64_e32 v[40:41], -0.5, v[138:139]
	v_fma_f64 v[148:149], s[10:11], v[122:123], v[40:41]
	v_fmac_f64_e32 v[40:41], s[4:5], v[122:123]
	v_fmac_f64_e32 v[148:149], s[2:3], v[120:121]
	;; [unrolled: 1-line block ×3, first 2 shown]
	v_add_f64 v[120:121], v[42:43], v[106:107]
	v_add_f64 v[138:139], v[108:109], -v[104:105]
	v_add_f64 v[140:141], v[112:113], -v[116:117]
	v_add_f64 v[120:121], v[120:121], v[110:111]
	v_add_f64 v[138:139], v[138:139], v[140:141]
	;; [unrolled: 1-line block ×3, first 2 shown]
	v_fmac_f64_e32 v[148:149], s[8:9], v[138:139]
	v_fmac_f64_e32 v[40:41], s[8:9], v[138:139]
	v_add_f64 v[138:139], v[120:121], v[118:119]
	v_add_f64 v[120:121], v[110:111], v[114:115]
	v_fma_f64 v[120:121], -0.5, v[120:121], v[42:43]
	v_add_f64 v[104:105], v[104:105], -v[116:117]
	v_fma_f64 v[140:141], s[10:11], v[104:105], v[120:121]
	v_add_f64 v[108:109], v[108:109], -v[112:113]
	v_add_f64 v[112:113], v[106:107], -v[110:111]
	;; [unrolled: 1-line block ×3, first 2 shown]
	v_fmac_f64_e32 v[120:121], s[4:5], v[104:105]
	v_fmac_f64_e32 v[140:141], s[12:13], v[108:109]
	v_add_f64 v[112:113], v[112:113], v[116:117]
	v_fmac_f64_e32 v[120:121], s[2:3], v[108:109]
	v_fmac_f64_e32 v[140:141], s[8:9], v[112:113]
	v_fmac_f64_e32 v[120:121], s[8:9], v[112:113]
	v_add_f64 v[112:113], v[106:107], v[118:119]
	v_fmac_f64_e32 v[42:43], -0.5, v[112:113]
	v_add_f64 v[64:65], v[146:147], v[152:153]
	v_add_f64 v[88:89], v[146:147], -v[152:153]
	v_fma_f64 v[146:147], s[4:5], v[108:109], v[42:43]
	v_fmac_f64_e32 v[42:43], s[10:11], v[108:109]
	v_fmac_f64_e32 v[146:147], s[12:13], v[104:105]
	;; [unrolled: 1-line block ×3, first 2 shown]
	v_add_f64 v[104:105], v[44:45], v[48:49]
	v_add_f64 v[104:105], v[104:105], v[52:53]
	;; [unrolled: 1-line block ×3, first 2 shown]
	v_add_f64 v[106:107], v[110:111], -v[106:107]
	v_add_f64 v[110:111], v[114:115], -v[118:119]
	s_waitcnt lgkmcnt(0)
	v_add_f64 v[108:109], v[104:105], v[60:61]
	v_add_f64 v[104:105], v[52:53], v[56:57]
	;; [unrolled: 1-line block ×3, first 2 shown]
	v_fma_f64 v[110:111], -0.5, v[104:105], v[44:45]
	v_add_f64 v[104:105], v[50:51], -v[62:63]
	v_fmac_f64_e32 v[146:147], s[8:9], v[106:107]
	v_fmac_f64_e32 v[42:43], s[8:9], v[106:107]
	v_fma_f64 v[106:107], s[4:5], v[104:105], v[110:111]
	v_add_f64 v[112:113], v[54:55], -v[58:59]
	v_add_f64 v[114:115], v[48:49], -v[52:53]
	;; [unrolled: 1-line block ×3, first 2 shown]
	v_fmac_f64_e32 v[110:111], s[10:11], v[104:105]
	v_fmac_f64_e32 v[106:107], s[2:3], v[112:113]
	v_add_f64 v[114:115], v[114:115], v[116:117]
	v_fmac_f64_e32 v[110:111], s[12:13], v[112:113]
	v_fmac_f64_e32 v[106:107], s[8:9], v[114:115]
	;; [unrolled: 1-line block ×3, first 2 shown]
	v_add_f64 v[114:115], v[48:49], v[60:61]
	v_fmac_f64_e32 v[44:45], -0.5, v[114:115]
	v_fma_f64 v[116:117], s[10:11], v[112:113], v[44:45]
	v_fmac_f64_e32 v[44:45], s[4:5], v[112:113]
	v_fmac_f64_e32 v[116:117], s[2:3], v[104:105]
	;; [unrolled: 1-line block ×3, first 2 shown]
	v_add_f64 v[104:105], v[46:47], v[50:51]
	v_add_f64 v[114:115], v[52:53], -v[48:49]
	v_add_f64 v[118:119], v[56:57], -v[60:61]
	v_add_f64 v[104:105], v[104:105], v[54:55]
	v_add_f64 v[114:115], v[114:115], v[118:119]
	;; [unrolled: 1-line block ×3, first 2 shown]
	v_fmac_f64_e32 v[116:117], s[8:9], v[114:115]
	v_fmac_f64_e32 v[44:45], s[8:9], v[114:115]
	v_add_f64 v[114:115], v[104:105], v[62:63]
	v_add_f64 v[104:105], v[54:55], v[58:59]
	v_fma_f64 v[112:113], -0.5, v[104:105], v[46:47]
	v_add_f64 v[48:49], v[48:49], -v[60:61]
	v_fma_f64 v[118:119], s[10:11], v[48:49], v[112:113]
	v_add_f64 v[52:53], v[52:53], -v[56:57]
	v_add_f64 v[56:57], v[50:51], -v[54:55]
	v_add_f64 v[60:61], v[62:63], -v[58:59]
	v_fmac_f64_e32 v[112:113], s[4:5], v[48:49]
	v_fmac_f64_e32 v[118:119], s[12:13], v[52:53]
	v_add_f64 v[56:57], v[56:57], v[60:61]
	v_fmac_f64_e32 v[112:113], s[2:3], v[52:53]
	v_fmac_f64_e32 v[118:119], s[8:9], v[56:57]
	;; [unrolled: 1-line block ×3, first 2 shown]
	v_add_f64 v[56:57], v[50:51], v[62:63]
	v_fmac_f64_e32 v[46:47], -0.5, v[56:57]
	v_fma_f64 v[122:123], s[4:5], v[52:53], v[46:47]
	v_add_f64 v[50:51], v[54:55], -v[50:51]
	v_add_f64 v[54:55], v[58:59], -v[62:63]
	v_fmac_f64_e32 v[46:47], s[10:11], v[52:53]
	v_fmac_f64_e32 v[122:123], s[12:13], v[48:49]
	v_add_f64 v[50:51], v[50:51], v[54:55]
	v_fmac_f64_e32 v[46:47], s[2:3], v[48:49]
	v_mul_f64 v[150:151], v[106:107], s[20:21]
	v_mul_f64 v[158:159], v[106:107], s[12:13]
	v_fmac_f64_e32 v[122:123], s[8:9], v[50:51]
	v_fmac_f64_e32 v[46:47], s[8:9], v[50:51]
	;; [unrolled: 1-line block ×4, first 2 shown]
	v_mul_f64 v[118:119], v[116:117], s[10:11]
	v_mul_f64 v[152:153], v[122:123], s[4:5]
	v_fmac_f64_e32 v[118:119], s[8:9], v[122:123]
	v_mul_f64 v[160:161], v[46:47], s[18:19]
	v_mul_f64 v[122:123], v[112:113], s[14:15]
	;; [unrolled: 1-line block ×3, first 2 shown]
	v_fmac_f64_e32 v[160:161], s[10:11], v[44:45]
	v_fmac_f64_e32 v[122:123], s[12:13], v[110:111]
	;; [unrolled: 1-line block ×3, first 2 shown]
	v_add_f64 v[50:51], v[146:147], v[118:119]
	v_add_f64 v[106:107], v[42:43], v[160:161]
	;; [unrolled: 1-line block ×3, first 2 shown]
	v_add_f64 v[46:47], v[146:147], -v[118:119]
	v_add_f64 v[118:119], v[42:43], -v[160:161]
	;; [unrolled: 1-line block ×3, first 2 shown]
	v_mul_lo_u16_e32 v120, 10, v178
	v_lshlrev_b32_e32 v248, 4, v120
	v_mul_lo_u16_sdwa v120, v178, s22 dst_sel:DWORD dst_unused:UNUSED_PAD src0_sel:BYTE_0 src1_sel:DWORD
	v_lshrrev_b16_e32 v133, 11, v120
	v_mul_lo_u16_e32 v120, 10, v133
	v_mul_f64 v[156:157], v[110:111], s[14:15]
	s_barrier
	ds_write_b128 v248, v[8:11]
	ds_write_b128 v248, v[4:7] offset:16
	ds_write_b128 v248, v[0:3] offset:32
	ds_write_b128 v248, v[16:19] offset:48
	ds_write_b128 v248, v[12:15] offset:64
	ds_write_b128 v248, v[28:31] offset:80
	ds_write_b128 v248, v[24:27] offset:96
	ds_write_b128 v248, v[20:23] offset:112
	ds_write_b128 v248, v[36:39] offset:128
	ds_write_b128 v248, v[32:35] offset:144
	v_mul_u32_u24_e32 v0, 10, v132
	v_sub_u16_e32 v120, v178, v120
	v_fmac_f64_e32 v[152:153], s[8:9], v[116:117]
	v_fmac_f64_e32 v[156:157], s[2:3], v[112:113]
	v_lshlrev_b32_e32 v242, 4, v0
	v_mul_u32_u24_e32 v0, 10, v134
	v_and_b32_e32 v135, 0xff, v120
	v_mov_b64_e32 v[120:121], s[6:7]
	v_add_f64 v[56:57], v[142:143], v[108:109]
	v_add_f64 v[52:53], v[144:145], v[150:151]
	;; [unrolled: 1-line block ×7, first 2 shown]
	v_add_f64 v[112:113], v[142:143], -v[108:109]
	v_add_f64 v[108:109], v[144:145], -v[150:151]
	;; [unrolled: 1-line block ×7, first 2 shown]
	v_lshlrev_b32_e32 v243, 4, v0
	v_mad_u64_u32 v[122:123], s[16:17], v135, s37, v[120:121]
	ds_write_b128 v242, v[72:75]
	ds_write_b128 v242, v[68:71] offset:16
	ds_write_b128 v242, v[64:67] offset:32
	ds_write_b128 v242, v[80:83] offset:48
	ds_write_b128 v242, v[76:79] offset:64
	ds_write_b128 v242, v[96:99] offset:80
	ds_write_b128 v242, v[92:95] offset:96
	ds_write_b128 v242, v[88:91] offset:112
	ds_write_b128 v242, v[100:103] offset:128
	ds_write_b128 v242, v[84:87] offset:144
	ds_write_b128 v243, v[56:59]
	ds_write_b128 v243, v[52:55] offset:16
	ds_write_b128 v243, v[48:51] offset:32
	ds_write_b128 v243, v[104:107] offset:48
	ds_write_b128 v243, v[60:63] offset:64
	ds_write_b128 v243, v[112:115] offset:80
	ds_write_b128 v243, v[108:111] offset:96
	ds_write_b128 v243, v[44:47] offset:112
	ds_write_b128 v243, v[116:119] offset:128
	ds_write_b128 v243, v[40:43] offset:144
	s_waitcnt lgkmcnt(0)
	s_barrier
	ds_read_b128 v[16:19], v240
	ds_read_b128 v[116:119], v240 offset:7680
	ds_read_b128 v[112:115], v240 offset:15360
	;; [unrolled: 1-line block ×29, first 2 shown]
	global_load_dwordx4 v[244:247], v[122:123], off offset:48
	global_load_dwordx4 v[138:141], v[122:123], off offset:32
	;; [unrolled: 1-line block ×3, first 2 shown]
	global_load_dwordx4 v[146:149], v[122:123], off
	s_waitcnt vmcnt(3) lgkmcnt(14)
	v_mul_f64 v[172:173], v[104:105], v[246:247]
	s_waitcnt vmcnt(2)
	v_mul_f64 v[164:165], v[108:109], v[140:141]
	s_waitcnt vmcnt(1)
	;; [unrolled: 2-line block ×3, first 2 shown]
	v_mul_f64 v[136:137], v[118:119], v[148:149]
	scratch_store_dwordx4 off, v[146:149], off offset:568 ; 16-byte Folded Spill
	v_fma_f64 v[144:145], v[116:117], v[146:147], -v[136:137]
	v_fmac_f64_e32 v[172:173], v[106:107], v[244:245]
	v_mul_f64 v[148:149], v[116:117], v[148:149]
	v_mul_f64 v[116:117], v[114:115], v[152:153]
	v_fma_f64 v[166:167], v[112:113], v[150:151], -v[116:117]
	v_mul_f64 v[112:113], v[110:111], v[140:141]
	v_fma_f64 v[162:163], v[108:109], v[138:139], -v[112:113]
	;; [unrolled: 2-line block ×3, first 2 shown]
	global_load_dwordx4 v[106:109], v[122:123], off offset:64
	v_fmac_f64_e32 v[148:149], v[118:119], v[146:147]
	scratch_store_dwordx4 off, v[150:153], off offset:548 ; 16-byte Folded Spill
	scratch_store_dwordx4 off, v[138:141], off offset:532 ; 16-byte Folded Spill
	v_fmac_f64_e32 v[168:169], v[114:115], v[150:151]
	v_fmac_f64_e32 v[164:165], v[110:111], v[138:139]
	s_waitcnt vmcnt(2)
	v_mul_f64 v[104:105], v[102:103], v[108:109]
	v_fma_f64 v[174:175], v[100:101], v[106:107], -v[104:105]
	v_mul_f64 v[176:177], v[100:101], v[108:109]
	v_mul_lo_u16_sdwa v100, v132, s22 dst_sel:DWORD dst_unused:UNUSED_PAD src0_sel:BYTE_0 src1_sel:DWORD
	v_lshrrev_b16_e32 v181, 11, v100
	v_mul_lo_u16_e32 v100, 10, v181
	v_sub_u16_e32 v100, v132, v100
	v_and_b32_e32 v182, 0xff, v100
	scratch_store_dwordx4 off, v[106:109], off offset:584 ; 16-byte Folded Spill
	v_mad_u64_u32 v[100:101], s[16:17], v182, s37, v[120:121]
	v_fmac_f64_e32 v[176:177], v[102:103], v[106:107]
	global_load_dwordx4 v[104:107], v[100:101], off offset:48
	global_load_dwordx4 v[108:111], v[100:101], off offset:32
	;; [unrolled: 1-line block ×3, first 2 shown]
	global_load_dwordx4 v[116:119], v[100:101], off
	s_mov_b32 s16, 0xcccd
	s_waitcnt vmcnt(3)
	v_mul_f64 v[160:161], v[84:85], v[106:107]
	s_waitcnt vmcnt(2)
	v_mul_f64 v[146:147], v[88:89], v[110:111]
	;; [unrolled: 2-line block ×4, first 2 shown]
	v_fma_f64 v[138:139], v[96:97], v[116:117], -v[102:103]
	v_mul_f64 v[140:141], v[96:97], v[118:119]
	v_mul_f64 v[96:97], v[94:95], v[114:115]
	v_fma_f64 v[154:155], v[92:93], v[112:113], -v[96:97]
	v_mul_f64 v[92:93], v[90:91], v[110:111]
	v_fma_f64 v[142:143], v[88:89], v[108:109], -v[92:93]
	;; [unrolled: 2-line block ×3, first 2 shown]
	v_fmac_f64_e32 v[160:161], v[86:87], v[104:105]
	global_load_dwordx4 v[86:89], v[100:101], off offset:64
	v_fmac_f64_e32 v[140:141], v[98:99], v[116:117]
	v_fmac_f64_e32 v[156:157], v[94:95], v[112:113]
	;; [unrolled: 1-line block ×3, first 2 shown]
	v_accvgpr_write_b32 a173, v115
	v_accvgpr_write_b32 a217, v111
	v_accvgpr_write_b32 a172, v114
	v_accvgpr_write_b32 a171, v113
	v_accvgpr_write_b32 a170, v112
	v_accvgpr_write_b32 a216, v110
	v_accvgpr_write_b32 a215, v109
	v_accvgpr_write_b32 a214, v108
	v_accvgpr_write_b32 a225, v119
	v_accvgpr_write_b32 a224, v118
	v_accvgpr_write_b32 a223, v117
	v_accvgpr_write_b32 a222, v116
	v_accvgpr_write_b32 a213, v107
	v_accvgpr_write_b32 a212, v106
	v_accvgpr_write_b32 a211, v105
	v_accvgpr_write_b32 a210, v104
	s_waitcnt vmcnt(0)
	v_mul_f64 v[84:85], v[82:83], v[88:89]
	v_fma_f64 v[150:151], v[80:81], v[86:87], -v[84:85]
	v_mul_f64 v[152:153], v[80:81], v[88:89]
	v_mul_u32_u24_sdwa v80, v134, s16 dst_sel:DWORD dst_unused:UNUSED_PAD src0_sel:WORD_0 src1_sel:DWORD
	v_lshrrev_b32_e32 v183, 19, v80
	v_mul_lo_u16_e32 v80, 10, v183
	v_sub_u16_e32 v186, v134, v80
	v_mul_lo_u16_e32 v80, 0x50, v186
	v_mov_b32_e32 v81, v241
	v_accvgpr_write_b32 a201, v89
	v_lshl_add_u64 v[80:81], s[6:7], 0, v[80:81]
	v_fmac_f64_e32 v[152:153], v[82:83], v[86:87]
	v_accvgpr_write_b32 a200, v88
	v_accvgpr_write_b32 a199, v87
	;; [unrolled: 1-line block ×3, first 2 shown]
	global_load_dwordx4 v[84:87], v[80:81], off offset:48
	global_load_dwordx4 v[88:91], v[80:81], off offset:32
	;; [unrolled: 1-line block ×3, first 2 shown]
	global_load_dwordx4 v[96:99], v[80:81], off
	s_waitcnt vmcnt(3)
	v_accvgpr_write_b32 a189, v87
	v_accvgpr_write_b32 a188, v86
	s_waitcnt vmcnt(1)
	v_mul_f64 v[136:137], v[72:73], v[94:95]
	s_waitcnt vmcnt(0)
	v_mul_f64 v[82:83], v[78:79], v[98:99]
	v_fma_f64 v[122:123], v[76:77], v[96:97], -v[82:83]
	global_load_dwordx4 v[80:83], v[80:81], off offset:64
	v_mul_f64 v[76:77], v[76:77], v[98:99]
	v_fmac_f64_e32 v[76:77], v[78:79], v[96:97]
	v_mul_f64 v[78:79], v[74:75], v[94:95]
	v_fma_f64 v[78:79], v[72:73], v[92:93], -v[78:79]
	v_mul_f64 v[72:73], v[70:71], v[90:91]
	v_fma_f64 v[72:73], v[68:69], v[88:89], -v[72:73]
	v_mul_f64 v[68:69], v[68:69], v[90:91]
	v_fmac_f64_e32 v[68:69], v[70:71], v[88:89]
	s_waitcnt lgkmcnt(13)
	v_mul_f64 v[70:71], v[66:67], v[86:87]
	v_fmac_f64_e32 v[136:137], v[74:75], v[92:93]
	v_fma_f64 v[70:71], v[64:65], v[84:85], -v[70:71]
	v_mul_f64 v[74:75], v[64:65], v[86:87]
	v_accvgpr_write_b32 a221, v99
	v_accvgpr_write_b32 a209, v95
	v_accvgpr_write_b32 a220, v98
	v_accvgpr_write_b32 a219, v97
	v_accvgpr_write_b32 a218, v96
	v_accvgpr_write_b32 a208, v94
	v_accvgpr_write_b32 a207, v93
	v_accvgpr_write_b32 a206, v92
	v_fmac_f64_e32 v[74:75], v[66:67], v[84:85]
	v_accvgpr_write_b32 a187, v85
	v_accvgpr_write_b32 a186, v84
	;; [unrolled: 1-line block ×6, first 2 shown]
	s_waitcnt vmcnt(0) lgkmcnt(12)
	v_mul_f64 v[64:65], v[62:63], v[82:83]
	v_fma_f64 v[64:65], v[60:61], v[80:81], -v[64:65]
	v_mul_f64 v[60:61], v[60:61], v[82:83]
	v_fmac_f64_e32 v[60:61], v[62:63], v[80:81]
	v_mul_u32_u24_sdwa v62, v128, s16 dst_sel:DWORD dst_unused:UNUSED_PAD src0_sel:WORD_0 src1_sel:DWORD
	v_lshrrev_b32_e32 v184, 19, v62
	v_mul_lo_u16_e32 v62, 10, v184
	v_sub_u16_e32 v187, v128, v62
	v_mul_lo_u16_e32 v62, 0x50, v187
	v_mov_b32_e32 v63, v241
	v_accvgpr_write_b32 a185, v83
	v_lshl_add_u64 v[62:63], s[6:7], 0, v[62:63]
	v_accvgpr_write_b32 a184, v82
	v_accvgpr_write_b32 a183, v81
	;; [unrolled: 1-line block ×3, first 2 shown]
	global_load_dwordx4 v[84:87], v[62:63], off offset:48
	global_load_dwordx4 v[80:83], v[62:63], off offset:32
	global_load_dwordx4 v[94:97], v[62:63], off offset:16
	global_load_dwordx4 v[98:101], v[62:63], off
	s_mov_b32 s16, 0xe8584caa
	s_mov_b32 s17, 0x3febb67a
	;; [unrolled: 1-line block ×3, first 2 shown]
	s_waitcnt vmcnt(3)
	scratch_store_dwordx4 off, v[84:87], off offset:680 ; 16-byte Folded Spill
	s_waitcnt vmcnt(1) lgkmcnt(10)
	v_mul_f64 v[66:67], v[58:59], v[100:101]
	v_mul_f64 v[92:93], v[56:57], v[100:101]
	v_accvgpr_write_b32 a197, v101
	v_fma_f64 v[90:91], v[56:57], v[98:99], -v[66:67]
	v_fmac_f64_e32 v[92:93], v[58:59], v[98:99]
	v_accvgpr_write_b32 a196, v100
	v_accvgpr_write_b32 a195, v99
	v_accvgpr_write_b32 a194, v98
	v_mov_b64_e32 v[98:99], v[96:97]
	v_mov_b64_e32 v[96:97], v[94:95]
	s_waitcnt lgkmcnt(9)
	v_mul_f64 v[56:57], v[54:55], v[98:99]
	v_mul_f64 v[94:95], v[52:53], v[98:99]
	v_fma_f64 v[88:89], v[52:53], v[96:97], -v[56:57]
	v_fmac_f64_e32 v[94:95], v[54:55], v[96:97]
	v_mov_b64_e32 v[54:55], v[80:81]
	v_mov_b64_e32 v[56:57], v[82:83]
	v_accvgpr_write_b32 a193, v99
	s_waitcnt lgkmcnt(8)
	v_mul_f64 v[52:53], v[50:51], v[56:57]
	v_accvgpr_write_b32 a192, v98
	v_accvgpr_write_b32 a191, v97
	;; [unrolled: 1-line block ×3, first 2 shown]
	v_fma_f64 v[80:81], v[48:49], v[54:55], -v[52:53]
	v_mul_f64 v[82:83], v[48:49], v[56:57]
	s_waitcnt lgkmcnt(7)
	v_mul_f64 v[48:49], v[46:47], v[86:87]
	v_mul_f64 v[98:99], v[44:45], v[86:87]
	v_fma_f64 v[96:97], v[44:45], v[84:85], -v[48:49]
	v_fmac_f64_e32 v[98:99], v[46:47], v[84:85]
	global_load_dwordx4 v[46:49], v[62:63], off offset:64
	v_fmac_f64_e32 v[82:83], v[50:51], v[54:55]
	scratch_store_dwordx4 off, v[54:57], off offset:696 ; 16-byte Folded Spill
	s_waitcnt vmcnt(1) lgkmcnt(6)
	v_mul_f64 v[44:45], v[42:43], v[48:49]
	v_fma_f64 v[84:85], v[40:41], v[46:47], -v[44:45]
	v_mul_f64 v[86:87], v[40:41], v[48:49]
	v_mov_b32_e32 v41, v185
	v_mul_u32_u24_e32 v40, 0xcccd, v41
	v_lshrrev_b32_e32 v185, 19, v40
	v_mul_lo_u16_e32 v40, 10, v185
	v_sub_u16_e32 v188, v41, v40
	v_mov_b32_e32 v191, v41
	v_mul_lo_u16_e32 v40, 0x50, v188
	v_mov_b32_e32 v41, v241
	scratch_store_dwordx4 off, v[46:49], off offset:600 ; 16-byte Folded Spill
	v_lshl_add_u64 v[40:41], s[6:7], 0, v[40:41]
	v_fmac_f64_e32 v[86:87], v[42:43], v[46:47]
	global_load_dwordx4 v[44:47], v[40:41], off offset:48
	global_load_dwordx4 v[48:51], v[40:41], off offset:32
	;; [unrolled: 1-line block ×3, first 2 shown]
	global_load_dwordx4 v[56:59], v[40:41], off
	s_waitcnt vmcnt(3) lgkmcnt(1)
	v_mul_f64 v[118:119], v[24:25], v[46:47]
	s_waitcnt vmcnt(2)
	v_mul_f64 v[102:103], v[28:29], v[50:51]
	s_waitcnt vmcnt(1)
	;; [unrolled: 2-line block ×3, first 2 shown]
	v_mul_f64 v[42:43], v[38:39], v[58:59]
	v_fma_f64 v[110:111], v[36:37], v[56:57], -v[42:43]
	v_mul_f64 v[112:113], v[36:37], v[58:59]
	v_mul_f64 v[36:37], v[34:35], v[54:55]
	v_fma_f64 v[108:109], v[32:33], v[52:53], -v[36:37]
	v_mul_f64 v[32:33], v[30:31], v[50:51]
	v_fma_f64 v[100:101], v[28:29], v[48:49], -v[32:33]
	;; [unrolled: 2-line block ×3, first 2 shown]
	v_fmac_f64_e32 v[118:119], v[26:27], v[44:45]
	global_load_dwordx4 v[26:29], v[40:41], off offset:64
	v_fmac_f64_e32 v[114:115], v[34:35], v[52:53]
	v_fmac_f64_e32 v[112:113], v[38:39], v[56:57]
	;; [unrolled: 1-line block ×3, first 2 shown]
	scratch_store_dwordx4 off, v[48:51], off offset:664 ; 16-byte Folded Spill
	scratch_store_dwordx4 off, v[44:47], off offset:644 ; 16-byte Folded Spill
	v_accvgpr_write_b32 a177, v55
	v_accvgpr_write_b32 a176, v54
	;; [unrolled: 1-line block ×8, first 2 shown]
	s_waitcnt vmcnt(2) lgkmcnt(0)
	v_mul_f64 v[24:25], v[22:23], v[28:29]
	v_fma_f64 v[104:105], v[20:21], v[26:27], -v[24:25]
	v_mul_f64 v[106:107], v[20:21], v[28:29]
	v_add_f64 v[20:21], v[16:17], v[166:167]
	v_add_f64 v[32:33], v[20:21], v[170:171]
	;; [unrolled: 1-line block ×3, first 2 shown]
	v_fmac_f64_e32 v[16:17], -0.5, v[20:21]
	v_add_f64 v[20:21], v[168:169], -v[172:173]
	v_fma_f64 v[34:35], s[16:17], v[20:21], v[16:17]
	v_fmac_f64_e32 v[16:17], s[22:23], v[20:21]
	v_add_f64 v[20:21], v[18:19], v[168:169]
	v_add_f64 v[38:39], v[20:21], v[172:173]
	;; [unrolled: 1-line block ×3, first 2 shown]
	v_fmac_f64_e32 v[18:19], -0.5, v[20:21]
	v_add_f64 v[20:21], v[166:167], -v[170:171]
	v_fma_f64 v[40:41], s[22:23], v[20:21], v[18:19]
	v_fmac_f64_e32 v[18:19], s[16:17], v[20:21]
	v_add_f64 v[20:21], v[144:145], v[162:163]
	v_add_f64 v[36:37], v[20:21], v[174:175]
	;; [unrolled: 1-line block ×3, first 2 shown]
	v_fmac_f64_e32 v[144:145], -0.5, v[20:21]
	v_add_f64 v[20:21], v[164:165], -v[176:177]
	v_fmac_f64_e32 v[106:107], v[22:23], v[26:27]
	v_fma_f64 v[22:23], s[16:17], v[20:21], v[144:145]
	v_fmac_f64_e32 v[144:145], s[22:23], v[20:21]
	v_add_f64 v[20:21], v[148:149], v[164:165]
	v_add_f64 v[42:43], v[20:21], v[176:177]
	;; [unrolled: 1-line block ×3, first 2 shown]
	v_fmac_f64_e32 v[148:149], -0.5, v[20:21]
	v_add_f64 v[20:21], v[162:163], -v[174:175]
	v_fma_f64 v[30:31], s[22:23], v[20:21], v[148:149]
	v_mul_f64 v[44:45], v[30:31], s[16:17]
	v_mul_f64 v[48:49], v[22:23], s[22:23]
	v_fmac_f64_e32 v[44:45], 0.5, v[22:23]
	v_fmac_f64_e32 v[48:49], 0.5, v[30:31]
	v_fmac_f64_e32 v[148:149], s[16:17], v[20:21]
	v_add_f64 v[24:25], v[32:33], v[36:37]
	v_add_f64 v[20:21], v[34:35], v[44:45]
	;; [unrolled: 1-line block ×3, first 2 shown]
	v_add_f64 v[36:37], v[32:33], -v[36:37]
	v_add_f64 v[32:33], v[34:35], -v[44:45]
	;; [unrolled: 1-line block ×3, first 2 shown]
	v_add_f64 v[40:41], v[12:13], v[154:155]
	v_add_f64 v[52:53], v[40:41], v[158:159]
	;; [unrolled: 1-line block ×3, first 2 shown]
	v_fmac_f64_e32 v[12:13], -0.5, v[40:41]
	v_add_f64 v[40:41], v[156:157], -v[160:161]
	v_fma_f64 v[54:55], s[16:17], v[40:41], v[12:13]
	v_fmac_f64_e32 v[12:13], s[22:23], v[40:41]
	v_add_f64 v[40:41], v[14:15], v[156:157]
	v_add_f64 v[58:59], v[40:41], v[160:161]
	;; [unrolled: 1-line block ×3, first 2 shown]
	v_fmac_f64_e32 v[14:15], -0.5, v[40:41]
	v_add_f64 v[40:41], v[154:155], -v[158:159]
	v_fma_f64 v[62:63], s[22:23], v[40:41], v[14:15]
	v_fmac_f64_e32 v[14:15], s[16:17], v[40:41]
	v_add_f64 v[40:41], v[138:139], v[142:143]
	v_add_f64 v[56:57], v[40:41], v[150:151]
	;; [unrolled: 1-line block ×3, first 2 shown]
	v_fmac_f64_e32 v[138:139], -0.5, v[40:41]
	v_add_f64 v[40:41], v[146:147], -v[152:153]
	scratch_store_dwordx4 off, v[26:29], off offset:616 ; 16-byte Folded Spill
	v_mul_f64 v[50:51], v[148:149], -0.5
	v_fmac_f64_e32 v[50:51], s[22:23], v[144:145]
	v_add_f64 v[26:27], v[38:39], v[42:43]
	v_add_f64 v[38:39], v[38:39], -v[42:43]
	v_fma_f64 v[42:43], s[16:17], v[40:41], v[138:139]
	v_fmac_f64_e32 v[138:139], s[22:23], v[40:41]
	v_add_f64 v[40:41], v[140:141], v[146:147]
	v_add_f64 v[66:67], v[40:41], v[152:153]
	;; [unrolled: 1-line block ×3, first 2 shown]
	v_fmac_f64_e32 v[140:141], -0.5, v[40:41]
	v_add_f64 v[40:41], v[142:143], -v[150:151]
	v_add_f64 v[30:31], v[18:19], v[50:51]
	v_add_f64 v[18:19], v[18:19], -v[50:51]
	v_fma_f64 v[50:51], s[22:23], v[40:41], v[140:141]
	v_mul_f64 v[142:143], v[50:51], s[16:17]
	v_mul_f64 v[146:147], v[42:43], s[22:23]
	v_mul_f64 v[46:47], v[144:145], -0.5
	v_fmac_f64_e32 v[140:141], s[16:17], v[40:41]
	v_fmac_f64_e32 v[142:143], 0.5, v[42:43]
	v_mul_f64 v[144:145], v[138:139], -0.5
	v_fmac_f64_e32 v[146:147], 0.5, v[50:51]
	v_add_f64 v[44:45], v[52:53], v[56:57]
	v_add_f64 v[40:41], v[54:55], v[142:143]
	v_fmac_f64_e32 v[144:145], s[16:17], v[140:141]
	v_add_f64 v[42:43], v[62:63], v[146:147]
	v_mul_f64 v[140:141], v[140:141], -0.5
	v_add_f64 v[56:57], v[52:53], -v[56:57]
	v_add_f64 v[52:53], v[54:55], -v[142:143]
	;; [unrolled: 1-line block ×3, first 2 shown]
	v_add_f64 v[62:63], v[8:9], v[78:79]
	v_fmac_f64_e32 v[140:141], s[22:23], v[138:139]
	v_add_f64 v[138:139], v[62:63], v[70:71]
	v_add_f64 v[62:63], v[78:79], v[70:71]
	v_fmac_f64_e32 v[8:9], -0.5, v[62:63]
	v_add_f64 v[62:63], v[136:137], -v[74:75]
	v_add_f64 v[50:51], v[14:15], v[140:141]
	v_add_f64 v[14:15], v[14:15], -v[140:141]
	v_fma_f64 v[140:141], s[16:17], v[62:63], v[8:9]
	v_fmac_f64_e32 v[8:9], s[22:23], v[62:63]
	v_add_f64 v[62:63], v[10:11], v[136:137]
	v_add_f64 v[142:143], v[62:63], v[74:75]
	v_add_f64 v[62:63], v[136:137], v[74:75]
	v_fmac_f64_e32 v[10:11], -0.5, v[62:63]
	v_add_f64 v[62:63], v[78:79], -v[70:71]
	v_fma_f64 v[74:75], s[22:23], v[62:63], v[10:11]
	v_fmac_f64_e32 v[10:11], s[16:17], v[62:63]
	v_add_f64 v[62:63], v[122:123], v[72:73]
	v_add_f64 v[78:79], v[62:63], v[64:65]
	v_add_f64 v[62:63], v[72:73], v[64:65]
	v_fmac_f64_e32 v[122:123], -0.5, v[62:63]
	;; [unrolled: 7-line block ×3, first 2 shown]
	v_add_f64 v[60:61], v[72:73], -v[64:65]
	v_fmac_f64_e32 v[46:47], s[16:17], v[148:149]
	v_add_f64 v[48:49], v[12:13], v[144:145]
	v_add_f64 v[12:13], v[12:13], -v[144:145]
	v_fma_f64 v[62:63], s[22:23], v[60:61], v[76:77]
	v_fmac_f64_e32 v[76:77], s[16:17], v[60:61]
	v_mul_f64 v[144:145], v[122:123], -0.5
	v_add_f64 v[28:29], v[16:17], v[46:47]
	v_add_f64 v[16:17], v[16:17], -v[46:47]
	v_add_f64 v[46:47], v[58:59], v[66:67]
	v_add_f64 v[58:59], v[58:59], -v[66:67]
	v_add_f64 v[64:65], v[138:139], v[78:79]
	v_fmac_f64_e32 v[144:145], s[16:17], v[76:77]
	v_add_f64 v[66:67], v[142:143], v[136:137]
	v_mul_f64 v[148:149], v[76:77], -0.5
	v_add_f64 v[76:77], v[138:139], -v[78:79]
	v_add_f64 v[78:79], v[142:143], -v[136:137]
	v_add_f64 v[136:137], v[88:89], v[96:97]
	v_fmac_f64_e32 v[148:149], s[22:23], v[122:123]
	v_add_f64 v[122:123], v[4:5], v[88:89]
	v_fmac_f64_e32 v[4:5], -0.5, v[136:137]
	v_add_f64 v[136:137], v[94:95], -v[98:99]
	v_fma_f64 v[138:139], s[16:17], v[136:137], v[4:5]
	v_fmac_f64_e32 v[4:5], s[22:23], v[136:137]
	v_add_f64 v[136:137], v[6:7], v[94:95]
	v_add_f64 v[94:95], v[94:95], v[98:99]
	v_fmac_f64_e32 v[6:7], -0.5, v[94:95]
	v_add_f64 v[88:89], v[88:89], -v[96:97]
	v_fma_f64 v[94:95], s[22:23], v[88:89], v[6:7]
	v_fmac_f64_e32 v[6:7], s[16:17], v[88:89]
	v_add_f64 v[88:89], v[90:91], v[80:81]
	v_add_f64 v[122:123], v[122:123], v[96:97]
	;; [unrolled: 1-line block ×4, first 2 shown]
	v_fmac_f64_e32 v[90:91], -0.5, v[88:89]
	v_add_f64 v[88:89], v[82:83], -v[86:87]
	v_add_f64 v[136:137], v[136:137], v[98:99]
	v_fma_f64 v[98:99], s[16:17], v[88:89], v[90:91]
	v_fmac_f64_e32 v[90:91], s[22:23], v[88:89]
	v_add_f64 v[88:89], v[92:93], v[82:83]
	v_add_f64 v[82:83], v[82:83], v[86:87]
	v_mul_f64 v[72:73], v[62:63], s[16:17]
	v_fmac_f64_e32 v[92:93], -0.5, v[82:83]
	v_add_f64 v[80:81], v[80:81], -v[84:85]
	v_fmac_f64_e32 v[72:73], 0.5, v[70:71]
	v_mul_f64 v[146:147], v[70:71], s[22:23]
	v_fma_f64 v[82:83], s[22:23], v[80:81], v[92:93]
	v_add_f64 v[60:61], v[140:141], v[72:73]
	v_fmac_f64_e32 v[146:147], 0.5, v[62:63]
	v_add_f64 v[72:73], v[140:141], -v[72:73]
	v_add_f64 v[140:141], v[88:89], v[86:87]
	v_mul_f64 v[142:143], v[82:83], s[16:17]
	v_add_f64 v[62:63], v[74:75], v[146:147]
	v_add_f64 v[74:75], v[74:75], -v[146:147]
	v_fmac_f64_e32 v[142:143], 0.5, v[98:99]
	v_add_f64 v[86:87], v[136:137], v[140:141]
	v_mul_f64 v[146:147], v[98:99], s[22:23]
	v_add_f64 v[98:99], v[136:137], -v[140:141]
	v_add_f64 v[136:137], v[108:109], v[116:117]
	v_add_f64 v[68:69], v[8:9], v[144:145]
	v_add_f64 v[8:9], v[8:9], -v[144:145]
	v_fmac_f64_e32 v[92:93], s[16:17], v[80:81]
	v_add_f64 v[84:85], v[122:123], v[96:97]
	v_mul_f64 v[144:145], v[90:91], -0.5
	v_add_f64 v[96:97], v[122:123], -v[96:97]
	v_add_f64 v[122:123], v[0:1], v[108:109]
	v_fmac_f64_e32 v[0:1], -0.5, v[136:137]
	v_add_f64 v[136:137], v[114:115], -v[118:119]
	v_add_f64 v[70:71], v[10:11], v[148:149]
	v_add_f64 v[10:11], v[10:11], -v[148:149]
	v_add_f64 v[80:81], v[138:139], v[142:143]
	v_fmac_f64_e32 v[144:145], s[16:17], v[92:93]
	v_mul_f64 v[148:149], v[92:93], -0.5
	v_add_f64 v[92:93], v[138:139], -v[142:143]
	v_fma_f64 v[138:139], s[16:17], v[136:137], v[0:1]
	v_fmac_f64_e32 v[0:1], s[22:23], v[136:137]
	v_add_f64 v[136:137], v[2:3], v[114:115]
	v_add_f64 v[114:115], v[114:115], v[118:119]
	v_fmac_f64_e32 v[2:3], -0.5, v[114:115]
	v_add_f64 v[108:109], v[108:109], -v[116:117]
	v_fma_f64 v[114:115], s[22:23], v[108:109], v[2:3]
	v_fmac_f64_e32 v[2:3], s[16:17], v[108:109]
	v_add_f64 v[108:109], v[110:111], v[100:101]
	v_add_f64 v[122:123], v[122:123], v[116:117]
	;; [unrolled: 1-line block ×4, first 2 shown]
	v_add_f64 v[100:101], v[100:101], -v[104:105]
	v_add_f64 v[104:105], v[122:123], v[116:117]
	v_add_f64 v[116:117], v[122:123], -v[116:117]
	v_mul_u32_u24_e32 v122, 60, v133
	v_add_lshl_u32 v122, v122, v135, 4
	s_barrier
	scratch_store_dword off, v122, off offset:528 ; 4-byte Folded Spill
	ds_write_b128 v122, v[24:27]
	ds_write_b128 v122, v[20:23] offset:160
	ds_write_b128 v122, v[28:31] offset:320
	;; [unrolled: 1-line block ×5, first 2 shown]
	v_mul_u32_u24_e32 v16, 60, v181
	v_fmac_f64_e32 v[110:111], -0.5, v[108:109]
	v_add_f64 v[108:109], v[102:103], -v[106:107]
	v_add_lshl_u32 v16, v16, v182, 4
	v_add_f64 v[136:137], v[136:137], v[118:119]
	v_fma_f64 v[118:119], s[16:17], v[108:109], v[110:111]
	v_fmac_f64_e32 v[110:111], s[22:23], v[108:109]
	v_add_f64 v[108:109], v[112:113], v[102:103]
	v_add_f64 v[102:103], v[102:103], v[106:107]
	scratch_store_dword off, v16, off offset:564 ; 4-byte Folded Spill
	ds_write_b128 v16, v[44:47]
	ds_write_b128 v16, v[40:43] offset:160
	ds_write_b128 v16, v[48:51] offset:320
	;; [unrolled: 1-line block ×5, first 2 shown]
	v_mad_legacy_u16 v12, v183, 60, v186
	v_fmac_f64_e32 v[112:113], -0.5, v[102:103]
	v_lshlrev_b32_e32 v12, 4, v12
	v_fmac_f64_e32 v[146:147], 0.5, v[82:83]
	v_fmac_f64_e32 v[148:149], s[22:23], v[90:91]
	v_fma_f64 v[102:103], s[22:23], v[100:101], v[112:113]
	v_fmac_f64_e32 v[112:113], s[16:17], v[100:101]
	scratch_store_dword off, v12, off offset:524 ; 4-byte Folded Spill
	ds_write_b128 v12, v[64:67]
	ds_write_b128 v12, v[60:63] offset:160
	ds_write_b128 v12, v[68:71] offset:320
	ds_write_b128 v12, v[76:79] offset:480
	ds_write_b128 v12, v[72:75] offset:640
	ds_write_b128 v12, v[8:11] offset:800
	v_mad_legacy_u16 v8, v184, 60, v187
	v_subrev_u32_e32 v122, 60, v178
	v_add_f64 v[88:89], v[4:5], v[144:145]
	v_add_f64 v[82:83], v[94:95], v[146:147]
	;; [unrolled: 1-line block ×3, first 2 shown]
	v_add_f64 v[4:5], v[4:5], -v[144:145]
	v_add_f64 v[94:95], v[94:95], -v[146:147]
	;; [unrolled: 1-line block ×3, first 2 shown]
	v_mul_f64 v[142:143], v[102:103], s[16:17]
	v_mul_f64 v[144:145], v[110:111], -0.5
	v_mul_f64 v[146:147], v[118:119], s[22:23]
	v_mul_f64 v[148:149], v[112:113], -0.5
	v_lshlrev_b32_e32 v8, 4, v8
	v_cndmask_b32_e32 v135, v122, v178, vcc
	v_add_f64 v[140:141], v[108:109], v[106:107]
	v_fmac_f64_e32 v[142:143], 0.5, v[118:119]
	v_fmac_f64_e32 v[144:145], s[16:17], v[112:113]
	v_fmac_f64_e32 v[146:147], 0.5, v[102:103]
	v_fmac_f64_e32 v[148:149], s[22:23], v[110:111]
	scratch_store_dword off, v8, off offset:496 ; 4-byte Folded Spill
	ds_write_b128 v8, v[84:87]
	ds_write_b128 v8, v[80:83] offset:160
	ds_write_b128 v8, v[88:91] offset:320
	;; [unrolled: 1-line block ×5, first 2 shown]
	v_mad_legacy_u16 v4, v185, 60, v188
	v_mul_hi_i32_i24_e32 v123, 0x50, v135
	v_mul_i32_i24_e32 v122, 0x50, v135
	v_add_f64 v[100:101], v[138:139], v[142:143]
	v_add_f64 v[108:109], v[0:1], v[144:145]
	;; [unrolled: 1-line block ×5, first 2 shown]
	v_add_f64 v[112:113], v[138:139], -v[142:143]
	v_add_f64 v[0:1], v[0:1], -v[144:145]
	;; [unrolled: 1-line block ×5, first 2 shown]
	v_lshlrev_b32_e32 v4, 4, v4
	v_lshl_add_u64 v[122:123], s[6:7], 0, v[122:123]
	scratch_store_dword off, v4, off offset:396 ; 4-byte Folded Spill
	ds_write_b128 v4, v[104:107]
	ds_write_b128 v4, v[100:103] offset:160
	ds_write_b128 v4, v[108:111] offset:320
	ds_write_b128 v4, v[116:119] offset:480
	ds_write_b128 v4, v[112:115] offset:640
	ds_write_b128 v4, v[0:3] offset:800
	s_waitcnt lgkmcnt(0)
	s_barrier
	ds_read_b128 v[28:31], v240
	ds_read_b128 v[116:119], v240 offset:7680
	ds_read_b128 v[112:115], v240 offset:15360
	;; [unrolled: 1-line block ×29, first 2 shown]
	global_load_dwordx4 v[138:141], v[122:123], off offset:848
	global_load_dwordx4 v[142:145], v[122:123], off offset:832
	;; [unrolled: 1-line block ×4, first 2 shown]
	v_cmp_lt_u16_e32 vcc, 59, v178
	s_waitcnt vmcnt(3) lgkmcnt(14)
	v_mul_f64 v[172:173], v[104:105], v[140:141]
	s_waitcnt vmcnt(2)
	v_mul_f64 v[160:161], v[108:109], v[144:145]
	s_waitcnt vmcnt(1)
	;; [unrolled: 2-line block ×3, first 2 shown]
	v_mul_f64 v[136:137], v[118:119], v[152:153]
	v_fma_f64 v[154:155], v[116:117], v[150:151], -v[136:137]
	v_mul_f64 v[156:157], v[116:117], v[152:153]
	v_mul_f64 v[116:117], v[114:115], v[148:149]
	v_fma_f64 v[162:163], v[112:113], v[146:147], -v[116:117]
	v_mul_f64 v[112:113], v[110:111], v[144:145]
	v_fma_f64 v[158:159], v[108:109], v[142:143], -v[112:113]
	;; [unrolled: 2-line block ×3, first 2 shown]
	v_fmac_f64_e32 v[172:173], v[106:107], v[138:139]
	global_load_dwordx4 v[106:109], v[122:123], off offset:864
	v_fmac_f64_e32 v[156:157], v[118:119], v[150:151]
	v_fmac_f64_e32 v[164:165], v[114:115], v[146:147]
	;; [unrolled: 1-line block ×3, first 2 shown]
	v_accvgpr_write_b32 a142, v146
	v_accvgpr_write_b32 a231, v153
	;; [unrolled: 1-line block ×16, first 2 shown]
	s_waitcnt vmcnt(0)
	v_mul_f64 v[104:105], v[102:103], v[108:109]
	v_fma_f64 v[166:167], v[100:101], v[106:107], -v[104:105]
	v_mul_f64 v[168:169], v[100:101], v[108:109]
	v_mul_lo_u16_sdwa v100, v132, s38 dst_sel:DWORD dst_unused:UNUSED_PAD src0_sel:BYTE_0 src1_sel:DWORD
	v_lshrrev_b16_e32 v174, 13, v100
	v_mul_lo_u16_e32 v100, 60, v174
	v_sub_u16_e32 v100, v132, v100
	v_and_b32_e32 v177, 0xff, v100
	v_accvgpr_write_b32 a135, v109
	v_mad_u64_u32 v[100:101], s[38:39], v177, s37, v[120:121]
	v_fmac_f64_e32 v[168:169], v[102:103], v[106:107]
	v_accvgpr_write_b32 a134, v108
	v_accvgpr_write_b32 a133, v107
	;; [unrolled: 1-line block ×3, first 2 shown]
	global_load_dwordx4 v[104:107], v[100:101], off offset:848
	global_load_dwordx4 v[108:111], v[100:101], off offset:832
	;; [unrolled: 1-line block ×4, first 2 shown]
	s_mov_b32 s37, 0x8889
	s_movk_i32 s38, 0xffb8
	s_mov_b32 s39, -1
	s_waitcnt vmcnt(3)
	v_mul_f64 v[152:153], v[84:85], v[106:107]
	s_waitcnt vmcnt(2)
	v_mul_f64 v[140:141], v[88:89], v[110:111]
	;; [unrolled: 2-line block ×4, first 2 shown]
	v_fma_f64 v[132:133], v[96:97], v[116:117], -v[102:103]
	v_mul_f64 v[136:137], v[96:97], v[118:119]
	v_mul_f64 v[96:97], v[94:95], v[114:115]
	v_fma_f64 v[146:147], v[92:93], v[112:113], -v[96:97]
	v_mul_f64 v[92:93], v[90:91], v[110:111]
	v_fma_f64 v[138:139], v[88:89], v[108:109], -v[92:93]
	;; [unrolled: 2-line block ×3, first 2 shown]
	v_fmac_f64_e32 v[152:153], v[86:87], v[104:105]
	global_load_dwordx4 v[86:89], v[100:101], off offset:864
	v_fmac_f64_e32 v[136:137], v[98:99], v[116:117]
	v_fmac_f64_e32 v[148:149], v[94:95], v[112:113]
	;; [unrolled: 1-line block ×3, first 2 shown]
	v_accvgpr_write_b32 a76, v112
	v_accvgpr_write_b32 a84, v108
	;; [unrolled: 1-line block ×16, first 2 shown]
	s_waitcnt vmcnt(0)
	v_mul_f64 v[84:85], v[82:83], v[88:89]
	v_fma_f64 v[142:143], v[80:81], v[86:87], -v[84:85]
	v_mul_f64 v[144:145], v[80:81], v[88:89]
	v_mul_u32_u24_sdwa v80, v134, s37 dst_sel:DWORD dst_unused:UNUSED_PAD src0_sel:WORD_0 src1_sel:DWORD
	v_lshrrev_b32_e32 v175, 21, v80
	v_mul_lo_u16_e32 v80, 60, v175
	v_sub_u16_e32 v181, v134, v80
	v_mul_lo_u16_e32 v80, 0x50, v181
	v_mov_b32_e32 v81, v241
	v_accvgpr_write_b32 a131, v89
	v_lshl_add_u64 v[80:81], s[6:7], 0, v[80:81]
	v_fmac_f64_e32 v[144:145], v[82:83], v[86:87]
	v_accvgpr_write_b32 a130, v88
	v_accvgpr_write_b32 a129, v87
	;; [unrolled: 1-line block ×3, first 2 shown]
	global_load_dwordx4 v[84:87], v[80:81], off offset:848
	global_load_dwordx4 v[88:91], v[80:81], off offset:832
	;; [unrolled: 1-line block ×4, first 2 shown]
	s_waitcnt vmcnt(3)
	v_accvgpr_write_b32 a153, v87
	v_accvgpr_write_b32 a152, v86
	s_waitcnt vmcnt(1)
	v_mul_f64 v[122:123], v[72:73], v[94:95]
	s_waitcnt vmcnt(0)
	v_mul_f64 v[82:83], v[78:79], v[98:99]
	v_fma_f64 v[120:121], v[76:77], v[96:97], -v[82:83]
	global_load_dwordx4 v[80:83], v[80:81], off offset:864
	v_mul_f64 v[76:77], v[76:77], v[98:99]
	v_fmac_f64_e32 v[76:77], v[78:79], v[96:97]
	v_mul_f64 v[78:79], v[74:75], v[94:95]
	v_fma_f64 v[78:79], v[72:73], v[92:93], -v[78:79]
	v_mul_f64 v[72:73], v[70:71], v[90:91]
	v_fma_f64 v[72:73], v[68:69], v[88:89], -v[72:73]
	v_mul_f64 v[68:69], v[68:69], v[90:91]
	v_fmac_f64_e32 v[68:69], v[70:71], v[88:89]
	s_waitcnt lgkmcnt(13)
	v_mul_f64 v[70:71], v[66:67], v[86:87]
	v_fmac_f64_e32 v[122:123], v[74:75], v[92:93]
	v_fma_f64 v[70:71], v[64:65], v[84:85], -v[70:71]
	v_mul_f64 v[74:75], v[64:65], v[86:87]
	v_accvgpr_write_b32 a80, v96
	v_accvgpr_write_b32 a99, v95
	;; [unrolled: 1-line block ×8, first 2 shown]
	v_fmac_f64_e32 v[74:75], v[66:67], v[84:85]
	v_accvgpr_write_b32 a151, v85
	v_accvgpr_write_b32 a150, v84
	;; [unrolled: 1-line block ×6, first 2 shown]
	s_waitcnt vmcnt(0) lgkmcnt(12)
	v_mul_f64 v[64:65], v[62:63], v[82:83]
	v_fma_f64 v[64:65], v[60:61], v[80:81], -v[64:65]
	v_mul_f64 v[60:61], v[60:61], v[82:83]
	v_fmac_f64_e32 v[60:61], v[62:63], v[80:81]
	v_mul_u32_u24_sdwa v62, v128, s37 dst_sel:DWORD dst_unused:UNUSED_PAD src0_sel:WORD_0 src1_sel:DWORD
	v_lshrrev_b32_e32 v134, 21, v62
	v_mul_lo_u16_e32 v62, 60, v134
	v_sub_u16_e32 v182, v128, v62
	v_mul_lo_u16_e32 v62, 0x50, v182
	v_mov_b32_e32 v63, v241
	v_accvgpr_write_b32 a157, v83
	v_lshl_add_u64 v[62:63], s[6:7], 0, v[62:63]
	v_accvgpr_write_b32 a156, v82
	v_accvgpr_write_b32 a155, v81
	;; [unrolled: 1-line block ×3, first 2 shown]
	global_load_dwordx4 v[84:87], v[62:63], off offset:848
	global_load_dwordx4 v[80:83], v[62:63], off offset:832
	;; [unrolled: 1-line block ×4, first 2 shown]
	s_movk_i32 s37, 0x168
	scratch_store_dword off, v191, off offset:304 ; 4-byte Folded Spill
	s_waitcnt vmcnt(4)
	v_accvgpr_write_b32 a253, v87
	v_accvgpr_write_b32 a252, v86
	;; [unrolled: 1-line block ×3, first 2 shown]
	s_waitcnt vmcnt(1) lgkmcnt(10)
	v_mul_f64 v[66:67], v[58:59], v[100:101]
	v_mul_f64 v[92:93], v[56:57], v[100:101]
	v_accvgpr_write_b32 a141, v101
	v_fma_f64 v[90:91], v[56:57], v[98:99], -v[66:67]
	v_fmac_f64_e32 v[92:93], v[58:59], v[98:99]
	v_accvgpr_write_b32 a140, v100
	v_accvgpr_write_b32 a139, v99
	;; [unrolled: 1-line block ×3, first 2 shown]
	v_mov_b64_e32 v[98:99], v[96:97]
	v_mov_b64_e32 v[96:97], v[94:95]
	s_waitcnt lgkmcnt(9)
	v_mul_f64 v[56:57], v[54:55], v[98:99]
	v_mul_f64 v[94:95], v[52:53], v[98:99]
	v_fma_f64 v[88:89], v[52:53], v[96:97], -v[56:57]
	v_fmac_f64_e32 v[94:95], v[54:55], v[96:97]
	v_mov_b64_e32 v[54:55], v[80:81]
	v_mov_b64_e32 v[56:57], v[82:83]
	v_accvgpr_write_b32 a149, v99
	s_waitcnt lgkmcnt(8)
	v_mul_f64 v[52:53], v[50:51], v[56:57]
	v_accvgpr_write_b32 a148, v98
	v_accvgpr_write_b32 a147, v97
	;; [unrolled: 1-line block ×3, first 2 shown]
	v_fma_f64 v[80:81], v[48:49], v[54:55], -v[52:53]
	v_mul_f64 v[82:83], v[48:49], v[56:57]
	s_waitcnt lgkmcnt(7)
	v_mul_f64 v[48:49], v[46:47], v[86:87]
	v_mul_f64 v[98:99], v[44:45], v[86:87]
	v_fma_f64 v[96:97], v[44:45], v[84:85], -v[48:49]
	v_fmac_f64_e32 v[98:99], v[46:47], v[84:85]
	global_load_dwordx4 v[46:49], v[62:63], off offset:864
	v_accvgpr_write_b32 a250, v84
	v_accvgpr_write_b32 a169, v57
	v_fmac_f64_e32 v[82:83], v[50:51], v[54:55]
	v_accvgpr_write_b32 a168, v56
	v_accvgpr_write_b32 a167, v55
	;; [unrolled: 1-line block ×3, first 2 shown]
	s_waitcnt vmcnt(0) lgkmcnt(6)
	v_mul_f64 v[44:45], v[42:43], v[48:49]
	v_fma_f64 v[84:85], v[40:41], v[46:47], -v[44:45]
	v_mul_f64 v[86:87], v[40:41], v[48:49]
	v_mul_u32_u24_e32 v40, 0x8889, v191
	v_lshrrev_b32_e32 v176, 21, v40
	v_mul_lo_u16_e32 v40, 60, v176
	v_sub_u16_e32 v183, v191, v40
	v_mul_lo_u16_e32 v40, 0x50, v183
	v_mov_b32_e32 v41, v241
	v_accvgpr_write_b32 a237, v49
	v_lshl_add_u64 v[40:41], s[6:7], 0, v[40:41]
	v_fmac_f64_e32 v[86:87], v[42:43], v[46:47]
	v_accvgpr_write_b32 a236, v48
	v_accvgpr_write_b32 a235, v47
	;; [unrolled: 1-line block ×3, first 2 shown]
	global_load_dwordx4 v[44:47], v[40:41], off offset:848
	global_load_dwordx4 v[48:51], v[40:41], off offset:832
	;; [unrolled: 1-line block ×4, first 2 shown]
	s_waitcnt vmcnt(3) lgkmcnt(1)
	v_mul_f64 v[118:119], v[20:21], v[46:47]
	s_waitcnt vmcnt(2)
	v_mul_f64 v[102:103], v[24:25], v[50:51]
	s_waitcnt vmcnt(1)
	;; [unrolled: 2-line block ×3, first 2 shown]
	v_mul_f64 v[42:43], v[38:39], v[58:59]
	v_fma_f64 v[110:111], v[36:37], v[56:57], -v[42:43]
	v_mul_f64 v[112:113], v[36:37], v[58:59]
	v_mul_f64 v[36:37], v[34:35], v[54:55]
	v_fma_f64 v[108:109], v[32:33], v[52:53], -v[36:37]
	v_mul_f64 v[32:33], v[26:27], v[50:51]
	v_fma_f64 v[100:101], v[24:25], v[48:49], -v[32:33]
	;; [unrolled: 2-line block ×3, first 2 shown]
	v_fmac_f64_e32 v[118:119], v[22:23], v[44:45]
	global_load_dwordx4 v[22:25], v[40:41], off offset:864
	v_fmac_f64_e32 v[114:115], v[34:35], v[52:53]
	v_fmac_f64_e32 v[112:113], v[38:39], v[56:57]
	;; [unrolled: 1-line block ×3, first 2 shown]
	v_accvgpr_write_b32 a249, v51
	v_accvgpr_write_b32 a245, v47
	v_accvgpr_write_b32 a248, v50
	v_accvgpr_write_b32 a247, v49
	v_accvgpr_write_b32 a246, v48
	v_accvgpr_write_b32 a244, v46
	v_accvgpr_write_b32 a243, v45
	v_accvgpr_write_b32 a242, v44
	v_accvgpr_write_b32 a165, v55
	v_accvgpr_write_b32 a164, v54
	v_accvgpr_write_b32 a163, v53
	v_accvgpr_write_b32 a162, v52
	v_accvgpr_write_b32 a161, v59
	v_accvgpr_write_b32 a160, v58
	v_accvgpr_write_b32 a159, v57
	v_accvgpr_write_b32 a158, v56
	s_waitcnt lgkmcnt(0)
	s_barrier
	s_waitcnt vmcnt(0)
	v_mul_f64 v[20:21], v[18:19], v[24:25]
	v_fma_f64 v[104:105], v[16:17], v[22:23], -v[20:21]
	v_mul_f64 v[106:107], v[16:17], v[24:25]
	v_add_f64 v[16:17], v[28:29], v[162:163]
	v_add_f64 v[32:33], v[16:17], v[170:171]
	;; [unrolled: 1-line block ×3, first 2 shown]
	v_fmac_f64_e32 v[28:29], -0.5, v[16:17]
	v_add_f64 v[16:17], v[164:165], -v[172:173]
	v_fma_f64 v[34:35], s[16:17], v[16:17], v[28:29]
	v_fmac_f64_e32 v[28:29], s[22:23], v[16:17]
	v_add_f64 v[16:17], v[30:31], v[164:165]
	v_add_f64 v[38:39], v[16:17], v[172:173]
	;; [unrolled: 1-line block ×3, first 2 shown]
	v_fmac_f64_e32 v[30:31], -0.5, v[16:17]
	v_add_f64 v[16:17], v[162:163], -v[170:171]
	v_fma_f64 v[40:41], s[22:23], v[16:17], v[30:31]
	v_fmac_f64_e32 v[30:31], s[16:17], v[16:17]
	v_add_f64 v[16:17], v[154:155], v[158:159]
	v_add_f64 v[36:37], v[16:17], v[166:167]
	;; [unrolled: 1-line block ×3, first 2 shown]
	v_fmac_f64_e32 v[154:155], -0.5, v[16:17]
	v_add_f64 v[16:17], v[160:161], -v[168:169]
	v_fmac_f64_e32 v[106:107], v[18:19], v[22:23]
	v_fma_f64 v[18:19], s[16:17], v[16:17], v[154:155]
	v_fmac_f64_e32 v[154:155], s[22:23], v[16:17]
	v_add_f64 v[16:17], v[156:157], v[160:161]
	v_add_f64 v[42:43], v[16:17], v[168:169]
	;; [unrolled: 1-line block ×3, first 2 shown]
	v_fmac_f64_e32 v[156:157], -0.5, v[16:17]
	v_add_f64 v[16:17], v[158:159], -v[166:167]
	v_fma_f64 v[26:27], s[22:23], v[16:17], v[156:157]
	v_mul_f64 v[44:45], v[26:27], s[16:17]
	v_mul_f64 v[48:49], v[18:19], s[22:23]
	v_fmac_f64_e32 v[44:45], 0.5, v[18:19]
	v_fmac_f64_e32 v[48:49], 0.5, v[26:27]
	v_fmac_f64_e32 v[156:157], s[16:17], v[16:17]
	v_add_f64 v[20:21], v[32:33], v[36:37]
	v_add_f64 v[16:17], v[34:35], v[44:45]
	;; [unrolled: 1-line block ×3, first 2 shown]
	v_add_f64 v[36:37], v[32:33], -v[36:37]
	v_add_f64 v[32:33], v[34:35], -v[44:45]
	;; [unrolled: 1-line block ×3, first 2 shown]
	v_add_f64 v[40:41], v[12:13], v[146:147]
	v_add_f64 v[52:53], v[40:41], v[150:151]
	v_add_f64 v[40:41], v[146:147], v[150:151]
	v_fmac_f64_e32 v[12:13], -0.5, v[40:41]
	v_add_f64 v[40:41], v[148:149], -v[152:153]
	v_fma_f64 v[54:55], s[16:17], v[40:41], v[12:13]
	v_fmac_f64_e32 v[12:13], s[22:23], v[40:41]
	v_add_f64 v[40:41], v[14:15], v[148:149]
	v_add_f64 v[58:59], v[40:41], v[152:153]
	;; [unrolled: 1-line block ×3, first 2 shown]
	v_fmac_f64_e32 v[14:15], -0.5, v[40:41]
	v_add_f64 v[40:41], v[146:147], -v[150:151]
	v_fma_f64 v[62:63], s[22:23], v[40:41], v[14:15]
	v_fmac_f64_e32 v[14:15], s[16:17], v[40:41]
	v_add_f64 v[40:41], v[132:133], v[138:139]
	v_add_f64 v[56:57], v[40:41], v[142:143]
	;; [unrolled: 1-line block ×3, first 2 shown]
	v_accvgpr_write_b32 a241, v25
	v_fmac_f64_e32 v[132:133], -0.5, v[40:41]
	v_add_f64 v[40:41], v[140:141], -v[144:145]
	v_accvgpr_write_b32 a240, v24
	v_accvgpr_write_b32 a239, v23
	;; [unrolled: 1-line block ×3, first 2 shown]
	v_add_f64 v[22:23], v[38:39], v[42:43]
	v_add_f64 v[38:39], v[38:39], -v[42:43]
	v_fma_f64 v[42:43], s[16:17], v[40:41], v[132:133]
	v_fmac_f64_e32 v[132:133], s[22:23], v[40:41]
	v_add_f64 v[40:41], v[136:137], v[140:141]
	v_mul_f64 v[50:51], v[156:157], -0.5
	v_add_f64 v[66:67], v[40:41], v[144:145]
	v_add_f64 v[40:41], v[140:141], v[144:145]
	v_fmac_f64_e32 v[50:51], s[22:23], v[154:155]
	v_fmac_f64_e32 v[136:137], -0.5, v[40:41]
	v_add_f64 v[40:41], v[138:139], -v[142:143]
	v_add_f64 v[26:27], v[30:31], v[50:51]
	v_add_f64 v[30:31], v[30:31], -v[50:51]
	v_fma_f64 v[50:51], s[22:23], v[40:41], v[136:137]
	v_mul_f64 v[138:139], v[50:51], s[16:17]
	v_mul_f64 v[142:143], v[42:43], s[22:23]
	v_fmac_f64_e32 v[136:137], s[16:17], v[40:41]
	v_fmac_f64_e32 v[138:139], 0.5, v[42:43]
	v_mul_f64 v[140:141], v[132:133], -0.5
	v_fmac_f64_e32 v[142:143], 0.5, v[50:51]
	v_add_f64 v[44:45], v[52:53], v[56:57]
	v_add_f64 v[40:41], v[54:55], v[138:139]
	v_fmac_f64_e32 v[140:141], s[16:17], v[136:137]
	v_add_f64 v[42:43], v[62:63], v[142:143]
	v_mul_f64 v[136:137], v[136:137], -0.5
	v_add_f64 v[56:57], v[52:53], -v[56:57]
	v_add_f64 v[52:53], v[54:55], -v[138:139]
	;; [unrolled: 1-line block ×3, first 2 shown]
	v_add_f64 v[62:63], v[8:9], v[78:79]
	v_fmac_f64_e32 v[136:137], s[22:23], v[132:133]
	v_add_f64 v[132:133], v[62:63], v[70:71]
	v_add_f64 v[62:63], v[78:79], v[70:71]
	v_fmac_f64_e32 v[8:9], -0.5, v[62:63]
	v_add_f64 v[62:63], v[122:123], -v[74:75]
	v_add_f64 v[50:51], v[14:15], v[136:137]
	v_add_f64 v[14:15], v[14:15], -v[136:137]
	v_fma_f64 v[136:137], s[16:17], v[62:63], v[8:9]
	v_fmac_f64_e32 v[8:9], s[22:23], v[62:63]
	v_add_f64 v[62:63], v[10:11], v[122:123]
	v_add_f64 v[138:139], v[62:63], v[74:75]
	;; [unrolled: 1-line block ×3, first 2 shown]
	v_fmac_f64_e32 v[10:11], -0.5, v[62:63]
	v_add_f64 v[62:63], v[78:79], -v[70:71]
	v_fma_f64 v[74:75], s[22:23], v[62:63], v[10:11]
	v_fmac_f64_e32 v[10:11], s[16:17], v[62:63]
	v_add_f64 v[62:63], v[120:121], v[72:73]
	v_add_f64 v[78:79], v[62:63], v[64:65]
	;; [unrolled: 1-line block ×3, first 2 shown]
	v_fmac_f64_e32 v[120:121], -0.5, v[62:63]
	v_add_f64 v[62:63], v[68:69], -v[60:61]
	v_fma_f64 v[70:71], s[16:17], v[62:63], v[120:121]
	v_fmac_f64_e32 v[120:121], s[22:23], v[62:63]
	v_add_f64 v[62:63], v[76:77], v[68:69]
	v_add_f64 v[122:123], v[62:63], v[60:61]
	;; [unrolled: 1-line block ×3, first 2 shown]
	v_mul_f64 v[46:47], v[154:155], -0.5
	v_fmac_f64_e32 v[76:77], -0.5, v[60:61]
	v_add_f64 v[60:61], v[72:73], -v[64:65]
	v_fmac_f64_e32 v[46:47], s[16:17], v[156:157]
	v_add_f64 v[48:49], v[12:13], v[140:141]
	v_add_f64 v[12:13], v[12:13], -v[140:141]
	v_fma_f64 v[62:63], s[22:23], v[60:61], v[76:77]
	v_fmac_f64_e32 v[76:77], s[16:17], v[60:61]
	v_mul_f64 v[140:141], v[120:121], -0.5
	v_add_f64 v[24:25], v[28:29], v[46:47]
	v_add_f64 v[28:29], v[28:29], -v[46:47]
	v_add_f64 v[46:47], v[58:59], v[66:67]
	v_add_f64 v[58:59], v[58:59], -v[66:67]
	v_add_f64 v[64:65], v[132:133], v[78:79]
	v_fmac_f64_e32 v[140:141], s[16:17], v[76:77]
	v_add_f64 v[66:67], v[138:139], v[122:123]
	v_mul_f64 v[144:145], v[76:77], -0.5
	v_add_f64 v[76:77], v[132:133], -v[78:79]
	v_add_f64 v[78:79], v[138:139], -v[122:123]
	v_add_f64 v[122:123], v[88:89], v[96:97]
	v_fmac_f64_e32 v[144:145], s[22:23], v[120:121]
	v_add_f64 v[120:121], v[4:5], v[88:89]
	v_fmac_f64_e32 v[4:5], -0.5, v[122:123]
	v_add_f64 v[122:123], v[94:95], -v[98:99]
	v_fma_f64 v[132:133], s[16:17], v[122:123], v[4:5]
	v_fmac_f64_e32 v[4:5], s[22:23], v[122:123]
	v_add_f64 v[122:123], v[6:7], v[94:95]
	v_add_f64 v[94:95], v[94:95], v[98:99]
	v_fmac_f64_e32 v[6:7], -0.5, v[94:95]
	v_add_f64 v[88:89], v[88:89], -v[96:97]
	v_fma_f64 v[94:95], s[22:23], v[88:89], v[6:7]
	v_fmac_f64_e32 v[6:7], s[16:17], v[88:89]
	v_add_f64 v[88:89], v[90:91], v[80:81]
	v_add_f64 v[120:121], v[120:121], v[96:97]
	;; [unrolled: 1-line block ×4, first 2 shown]
	v_fmac_f64_e32 v[90:91], -0.5, v[88:89]
	v_add_f64 v[88:89], v[82:83], -v[86:87]
	v_add_f64 v[122:123], v[122:123], v[98:99]
	v_fma_f64 v[98:99], s[16:17], v[88:89], v[90:91]
	v_fmac_f64_e32 v[90:91], s[22:23], v[88:89]
	v_add_f64 v[88:89], v[92:93], v[82:83]
	v_add_f64 v[82:83], v[82:83], v[86:87]
	v_mul_f64 v[72:73], v[62:63], s[16:17]
	v_fmac_f64_e32 v[92:93], -0.5, v[82:83]
	v_add_f64 v[80:81], v[80:81], -v[84:85]
	v_fmac_f64_e32 v[72:73], 0.5, v[70:71]
	v_mul_f64 v[142:143], v[70:71], s[22:23]
	v_fma_f64 v[82:83], s[22:23], v[80:81], v[92:93]
	v_add_f64 v[60:61], v[136:137], v[72:73]
	v_fmac_f64_e32 v[142:143], 0.5, v[62:63]
	v_add_f64 v[72:73], v[136:137], -v[72:73]
	v_add_f64 v[136:137], v[88:89], v[86:87]
	v_mul_f64 v[138:139], v[82:83], s[16:17]
	v_add_f64 v[62:63], v[74:75], v[142:143]
	v_add_f64 v[74:75], v[74:75], -v[142:143]
	v_fmac_f64_e32 v[138:139], 0.5, v[98:99]
	v_add_f64 v[86:87], v[122:123], v[136:137]
	v_mul_f64 v[142:143], v[98:99], s[22:23]
	v_add_f64 v[98:99], v[122:123], -v[136:137]
	v_add_f64 v[122:123], v[108:109], v[116:117]
	v_add_f64 v[68:69], v[8:9], v[140:141]
	v_add_f64 v[8:9], v[8:9], -v[140:141]
	v_fmac_f64_e32 v[92:93], s[16:17], v[80:81]
	v_add_f64 v[84:85], v[120:121], v[96:97]
	v_mul_f64 v[140:141], v[90:91], -0.5
	v_add_f64 v[96:97], v[120:121], -v[96:97]
	v_add_f64 v[120:121], v[0:1], v[108:109]
	v_fmac_f64_e32 v[0:1], -0.5, v[122:123]
	v_add_f64 v[122:123], v[114:115], -v[118:119]
	v_add_f64 v[70:71], v[10:11], v[144:145]
	v_add_f64 v[10:11], v[10:11], -v[144:145]
	v_add_f64 v[80:81], v[132:133], v[138:139]
	v_fmac_f64_e32 v[140:141], s[16:17], v[92:93]
	v_mul_f64 v[144:145], v[92:93], -0.5
	v_add_f64 v[92:93], v[132:133], -v[138:139]
	v_fma_f64 v[132:133], s[16:17], v[122:123], v[0:1]
	v_fmac_f64_e32 v[0:1], s[22:23], v[122:123]
	v_add_f64 v[122:123], v[2:3], v[114:115]
	v_add_f64 v[114:115], v[114:115], v[118:119]
	v_fmac_f64_e32 v[2:3], -0.5, v[114:115]
	v_add_f64 v[108:109], v[108:109], -v[116:117]
	v_fma_f64 v[114:115], s[22:23], v[108:109], v[2:3]
	v_fmac_f64_e32 v[2:3], s[16:17], v[108:109]
	v_add_f64 v[108:109], v[110:111], v[100:101]
	v_add_f64 v[120:121], v[120:121], v[116:117]
	;; [unrolled: 1-line block ×4, first 2 shown]
	v_add_f64 v[100:101], v[100:101], -v[104:105]
	v_add_f64 v[104:105], v[120:121], v[116:117]
	v_add_f64 v[116:117], v[120:121], -v[116:117]
	v_mov_b32_e32 v120, 0x168
	v_cndmask_b32_e32 v120, 0, v120, vcc
	v_add_lshl_u32 v120, v135, v120, 4
	ds_write_b128 v120, v[20:23]
	ds_write_b128 v120, v[16:19] offset:960
	ds_write_b128 v120, v[24:27] offset:1920
	;; [unrolled: 1-line block ×5, first 2 shown]
	v_mul_u32_u24_e32 v16, 0x168, v174
	v_fmac_f64_e32 v[110:111], -0.5, v[108:109]
	v_add_f64 v[108:109], v[102:103], -v[106:107]
	v_add_lshl_u32 v16, v16, v177, 4
	v_add_f64 v[122:123], v[122:123], v[118:119]
	v_fma_f64 v[118:119], s[16:17], v[108:109], v[110:111]
	v_fmac_f64_e32 v[110:111], s[22:23], v[108:109]
	v_add_f64 v[108:109], v[112:113], v[102:103]
	v_add_f64 v[102:103], v[102:103], v[106:107]
	ds_write_b128 v16, v[44:47]
	ds_write_b128 v16, v[40:43] offset:960
	ds_write_b128 v16, v[48:51] offset:1920
	;; [unrolled: 1-line block ×5, first 2 shown]
	v_mad_legacy_u16 v12, v175, s37, v181
	v_fmac_f64_e32 v[112:113], -0.5, v[102:103]
	v_lshlrev_b32_e32 v12, 4, v12
	v_fmac_f64_e32 v[142:143], 0.5, v[82:83]
	v_fmac_f64_e32 v[144:145], s[22:23], v[90:91]
	v_fma_f64 v[102:103], s[22:23], v[100:101], v[112:113]
	v_fmac_f64_e32 v[112:113], s[16:17], v[100:101]
	ds_write_b128 v12, v[64:67]
	ds_write_b128 v12, v[60:63] offset:960
	ds_write_b128 v12, v[68:71] offset:1920
	;; [unrolled: 1-line block ×5, first 2 shown]
	v_mad_legacy_u16 v8, v134, s37, v182
	v_add_f64 v[88:89], v[4:5], v[140:141]
	v_add_f64 v[82:83], v[94:95], v[142:143]
	;; [unrolled: 1-line block ×3, first 2 shown]
	v_add_f64 v[4:5], v[4:5], -v[140:141]
	v_add_f64 v[94:95], v[94:95], -v[142:143]
	;; [unrolled: 1-line block ×3, first 2 shown]
	v_add_f64 v[136:137], v[108:109], v[106:107]
	v_mul_f64 v[138:139], v[102:103], s[16:17]
	v_mul_f64 v[140:141], v[110:111], -0.5
	v_mul_f64 v[142:143], v[118:119], s[22:23]
	v_mul_f64 v[144:145], v[112:113], -0.5
	v_accvgpr_write_b32 a227, v120
	v_lshlrev_b32_e32 v8, 4, v8
	v_lshl_add_u64 v[120:121], s[6:7], 0, v[240:241]
	v_fmac_f64_e32 v[138:139], 0.5, v[118:119]
	v_fmac_f64_e32 v[140:141], s[16:17], v[112:113]
	v_add_f64 v[106:107], v[122:123], v[136:137]
	v_fmac_f64_e32 v[142:143], 0.5, v[102:103]
	v_fmac_f64_e32 v[144:145], s[22:23], v[110:111]
	v_add_f64 v[118:119], v[122:123], -v[136:137]
	scratch_store_dword off, v8, off offset:660 ; 4-byte Folded Spill
	ds_write_b128 v8, v[84:87]
	ds_write_b128 v8, v[80:83] offset:960
	ds_write_b128 v8, v[88:91] offset:1920
	;; [unrolled: 1-line block ×5, first 2 shown]
	v_mad_legacy_u16 v4, v176, s37, v183
	v_add_co_u32_e32 v136, vcc, s26, v120
	v_add_f64 v[100:101], v[132:133], v[138:139]
	v_add_f64 v[108:109], v[0:1], v[140:141]
	;; [unrolled: 1-line block ×4, first 2 shown]
	v_add_f64 v[112:113], v[132:133], -v[138:139]
	v_add_f64 v[0:1], v[0:1], -v[140:141]
	;; [unrolled: 1-line block ×4, first 2 shown]
	v_lshlrev_b32_e32 v4, 4, v4
	v_addc_co_u32_e32 v137, vcc, 0, v121, vcc
	v_accvgpr_write_b32 a255, v16
	v_accvgpr_write_b32 a233, v12
	scratch_store_dword off, v4, off offset:640 ; 4-byte Folded Spill
	ds_write_b128 v4, v[104:107]
	ds_write_b128 v4, v[100:103] offset:960
	ds_write_b128 v4, v[108:111] offset:1920
	;; [unrolled: 1-line block ×5, first 2 shown]
	s_waitcnt lgkmcnt(0)
	s_barrier
	ds_read_b128 v[56:59], v240
	ds_read_b128 v[116:119], v240 offset:23040
	ds_read_b128 v[52:55], v240 offset:1536
	ds_read_b128 v[112:115], v240 offset:24576
	ds_read_b128 v[48:51], v240 offset:3072
	ds_read_b128 v[108:111], v240 offset:26112
	ds_read_b128 v[44:47], v240 offset:4608
	ds_read_b128 v[104:107], v240 offset:27648
	ds_read_b128 v[40:43], v240 offset:6144
	ds_read_b128 v[100:103], v240 offset:29184
	ds_read_b128 v[36:39], v240 offset:7680
	ds_read_b128 v[96:99], v240 offset:30720
	ds_read_b128 v[32:35], v240 offset:9216
	ds_read_b128 v[92:95], v240 offset:32256
	ds_read_b128 v[28:31], v240 offset:10752
	ds_read_b128 v[88:91], v240 offset:33792
	ds_read_b128 v[24:27], v240 offset:12288
	ds_read_b128 v[84:87], v240 offset:35328
	ds_read_b128 v[20:23], v240 offset:13824
	ds_read_b128 v[80:83], v240 offset:36864
	ds_read_b128 v[16:19], v240 offset:15360
	ds_read_b128 v[76:79], v240 offset:38400
	ds_read_b128 v[12:15], v240 offset:16896
	ds_read_b128 v[72:75], v240 offset:39936
	ds_read_b128 v[8:11], v240 offset:18432
	ds_read_b128 v[68:71], v240 offset:41472
	ds_read_b128 v[4:7], v240 offset:19968
	ds_read_b128 v[64:67], v240 offset:43008
	ds_read_b128 v[0:3], v240 offset:21504
	ds_read_b128 v[60:63], v240 offset:44544
	global_load_dwordx4 v[138:141], v[136:137], off offset:1504
	s_movk_i32 s37, 0x48
	scratch_store_dword off, v189, off offset:372 ; 4-byte Folded Spill
	scratch_store_dword off, v190, off offset:376 ; 4-byte Folded Spill
	s_waitcnt vmcnt(2) lgkmcnt(14)
	v_mul_f64 v[122:123], v[118:119], v[140:141]
	v_mul_f64 v[132:133], v[116:117], v[140:141]
	v_accvgpr_write_b32 a56, v138
	v_fma_f64 v[134:135], v[116:117], v[138:139], -v[122:123]
	v_fmac_f64_e32 v[132:133], v[118:119], v[138:139]
	v_accvgpr_write_b32 a57, v139
	v_accvgpr_write_b32 a58, v140
	;; [unrolled: 1-line block ×3, first 2 shown]
	global_load_dwordx4 v[138:141], v[136:137], off offset:3040
	v_add_co_u32_e32 v122, vcc, s27, v120
	s_waitcnt vmcnt(0)
	v_mul_f64 v[116:117], v[114:115], v[140:141]
	v_fma_f64 v[118:119], v[112:113], v[138:139], -v[116:117]
	v_mul_f64 v[116:117], v[112:113], v[140:141]
	v_accvgpr_write_b32 a68, v138
	v_addc_co_u32_e32 v123, vcc, 0, v121, vcc
	v_fmac_f64_e32 v[116:117], v[114:115], v[138:139]
	v_accvgpr_write_b32 a69, v139
	v_accvgpr_write_b32 a70, v140
	;; [unrolled: 1-line block ×3, first 2 shown]
	global_load_dwordx4 v[138:141], v[122:123], off offset:480
	v_cmp_gt_u16_e32 vcc, s37, v178
	s_movk_i32 s37, 0x2d83
	s_waitcnt vmcnt(0)
	v_mul_f64 v[112:113], v[110:111], v[140:141]
	v_fma_f64 v[114:115], v[108:109], v[138:139], -v[112:113]
	v_mul_f64 v[112:113], v[108:109], v[140:141]
	v_lshl_add_u64 v[108:109], v[178:179], 0, s[38:39]
	v_cndmask_b32_e32 v109, v109, v129, vcc
	v_cndmask_b32_e32 v108, v108, v128, vcc
	v_fmac_f64_e32 v[112:113], v[110:111], v[138:139]
	v_lshl_add_u64 v[110:111], v[108:109], 4, s[6:7]
	v_add_co_u32_e32 v110, vcc, s26, v110
	v_accvgpr_write_b32 a64, v138
	s_nop 0
	v_addc_co_u32_e32 v111, vcc, 0, v111, vcc
	v_accvgpr_write_b32 a65, v139
	v_accvgpr_write_b32 a66, v140
	;; [unrolled: 1-line block ×3, first 2 shown]
	global_load_dwordx4 v[138:141], v[110:111], off offset:1504
	v_add_f64 v[114:115], v[48:49], -v[114:115]
	v_fma_f64 v[48:49], v[48:49], 2.0, -v[114:115]
	s_movk_i32 s38, 0xffd0
	s_mov_b32 s39, -1
	s_waitcnt vmcnt(0)
	v_mul_f64 v[110:111], v[106:107], v[140:141]
	v_fma_f64 v[110:111], v[104:105], v[138:139], -v[110:111]
	v_mul_f64 v[104:105], v[104:105], v[140:141]
	v_accvgpr_write_b32 a60, v138
	v_fmac_f64_e32 v[104:105], v[106:107], v[138:139]
	v_accvgpr_write_b32 a61, v139
	v_accvgpr_write_b32 a62, v140
	;; [unrolled: 1-line block ×3, first 2 shown]
	global_load_dwordx4 v[138:141], v[136:137], off offset:1888
	v_add_f64 v[110:111], v[44:45], -v[110:111]
	v_fma_f64 v[44:45], v[44:45], 2.0, -v[110:111]
	s_waitcnt vmcnt(0)
	v_mul_f64 v[106:107], v[102:103], v[140:141]
	v_fma_f64 v[106:107], v[100:101], v[138:139], -v[106:107]
	v_mul_f64 v[100:101], v[100:101], v[140:141]
	v_accvgpr_write_b32 a52, v138
	v_fmac_f64_e32 v[100:101], v[102:103], v[138:139]
	v_accvgpr_write_b32 a53, v139
	v_accvgpr_write_b32 a54, v140
	;; [unrolled: 1-line block ×3, first 2 shown]
	global_load_dwordx4 v[136:139], v[136:137], off offset:3424
	s_waitcnt vmcnt(0)
	v_mul_f64 v[102:103], v[98:99], v[138:139]
	v_fma_f64 v[102:103], v[96:97], v[136:137], -v[102:103]
	v_mul_f64 v[96:97], v[96:97], v[138:139]
	v_accvgpr_write_b32 a48, v136
	v_fmac_f64_e32 v[96:97], v[98:99], v[136:137]
	v_accvgpr_write_b32 a49, v137
	v_accvgpr_write_b32 a50, v138
	;; [unrolled: 1-line block ×3, first 2 shown]
	global_load_dwordx4 v[136:139], v[122:123], off offset:864
	s_waitcnt vmcnt(0)
	v_mul_f64 v[98:99], v[94:95], v[138:139]
	v_fma_f64 v[98:99], v[92:93], v[136:137], -v[98:99]
	v_mul_f64 v[92:93], v[92:93], v[138:139]
	v_fmac_f64_e32 v[92:93], v[94:95], v[136:137]
	v_mul_u32_u24_sdwa v94, v126, s37 dst_sel:DWORD dst_unused:UNUSED_PAD src0_sel:WORD_0 src1_sel:DWORD
	v_lshrrev_b32_e32 v109, 22, v94
	v_mul_lo_u16_e32 v94, 0x168, v109
	v_sub_u16_e32 v128, v126, v94
	v_lshlrev_b32_e32 v94, 4, v128
	v_mov_b32_e32 v95, v241
	v_lshl_add_u64 v[94:95], s[6:7], 0, v[94:95]
	v_add_co_u32_e32 v94, vcc, s26, v94
	v_accvgpr_write_b32 a104, v136
	s_nop 0
	v_addc_co_u32_e32 v95, vcc, 0, v95, vcc
	v_accvgpr_write_b32 a105, v137
	v_accvgpr_write_b32 a106, v138
	;; [unrolled: 1-line block ×3, first 2 shown]
	global_load_dwordx4 v[136:139], v[94:95], off offset:1504
	s_waitcnt vmcnt(0)
	v_mul_f64 v[94:95], v[90:91], v[138:139]
	v_fma_f64 v[94:95], v[88:89], v[136:137], -v[94:95]
	v_mul_f64 v[88:89], v[88:89], v[138:139]
	v_fmac_f64_e32 v[88:89], v[90:91], v[136:137]
	v_mul_u32_u24_e32 v90, 0x2d83, v189
	v_lshrrev_b32_e32 v90, 22, v90
	v_mul_lo_u16_e32 v90, 0x168, v90
	v_accvgpr_write_b32 a108, v136
	v_sub_u16_e32 v90, v189, v90
	v_accvgpr_write_b32 a109, v137
	v_accvgpr_write_b32 a110, v138
	v_accvgpr_write_b32 a111, v139
	v_lshlrev_b32_e32 v136, 4, v90
	v_mov_b32_e32 v137, v241
	v_lshl_add_u64 v[90:91], s[6:7], 0, v[136:137]
	v_add_co_u32_e32 v90, vcc, s26, v90
	v_mov_b32_e32 v144, v136
	s_nop 0
	v_addc_co_u32_e32 v91, vcc, 0, v91, vcc
	global_load_dwordx4 v[136:139], v[90:91], off offset:1504
	v_accvgpr_write_b32 a232, v144
	s_waitcnt vmcnt(0) lgkmcnt(12)
	v_mul_f64 v[90:91], v[86:87], v[138:139]
	v_fma_f64 v[90:91], v[84:85], v[136:137], -v[90:91]
	v_mul_f64 v[84:85], v[84:85], v[138:139]
	v_fmac_f64_e32 v[84:85], v[86:87], v[136:137]
	v_mul_u32_u24_sdwa v86, v124, s37 dst_sel:DWORD dst_unused:UNUSED_PAD src0_sel:WORD_0 src1_sel:DWORD
	v_lshrrev_b32_e32 v86, 22, v86
	v_mul_lo_u16_e32 v86, 0x168, v86
	v_accvgpr_write_b32 a16, v136
	v_sub_u16_e32 v86, v124, v86
	v_accvgpr_write_b32 a17, v137
	v_accvgpr_write_b32 a18, v138
	v_accvgpr_write_b32 a19, v139
	v_lshlrev_b32_e32 v136, 4, v86
	v_mov_b32_e32 v137, v241
	v_lshl_add_u64 v[86:87], s[6:7], 0, v[136:137]
	v_add_co_u32_e32 v86, vcc, s26, v86
	v_mov_b32_e32 v146, v136
	s_nop 0
	v_addc_co_u32_e32 v87, vcc, 0, v87, vcc
	global_load_dwordx4 v[136:139], v[86:87], off offset:1504
	v_accvgpr_write_b32 a24, v146
	s_waitcnt vmcnt(0) lgkmcnt(10)
	v_mul_f64 v[86:87], v[82:83], v[138:139]
	v_fma_f64 v[86:87], v[80:81], v[136:137], -v[86:87]
	v_mul_f64 v[80:81], v[80:81], v[138:139]
	v_fmac_f64_e32 v[80:81], v[82:83], v[136:137]
	v_mul_u32_u24_sdwa v82, v180, s37 dst_sel:DWORD dst_unused:UNUSED_PAD src0_sel:WORD_0 src1_sel:DWORD
	;; [unrolled: 22-line block ×3, first 2 shown]
	v_lshrrev_b32_e32 v129, 22, v78
	v_mul_lo_u16_e32 v78, 0x168, v129
	v_sub_u16_e32 v142, v130, v78
	v_lshlrev_b32_e32 v78, 4, v142
	v_mov_b32_e32 v79, v241
	v_lshl_add_u64 v[78:79], s[6:7], 0, v[78:79]
	v_add_co_u32_e32 v78, vcc, s26, v78
	v_accvgpr_write_b32 a12, v136
	s_nop 0
	v_addc_co_u32_e32 v79, vcc, 0, v79, vcc
	v_accvgpr_write_b32 a13, v137
	v_accvgpr_write_b32 a14, v138
	;; [unrolled: 1-line block ×3, first 2 shown]
	global_load_dwordx4 v[136:139], v[78:79], off offset:1504
	s_waitcnt vmcnt(0) lgkmcnt(6)
	v_mul_f64 v[78:79], v[74:75], v[138:139]
	v_fma_f64 v[78:79], v[72:73], v[136:137], -v[78:79]
	v_mul_f64 v[72:73], v[72:73], v[138:139]
	v_fmac_f64_e32 v[72:73], v[74:75], v[136:137]
	v_mul_u32_u24_e32 v74, 0x2d83, v190
	v_lshrrev_b32_e32 v74, 22, v74
	v_mul_lo_u16_e32 v74, 0x168, v74
	v_accvgpr_write_b32 a8, v136
	v_sub_u16_e32 v74, v190, v74
	v_accvgpr_write_b32 a9, v137
	v_accvgpr_write_b32 a10, v138
	;; [unrolled: 1-line block ×3, first 2 shown]
	v_lshlrev_b32_e32 v136, 4, v74
	v_mov_b32_e32 v137, v241
	v_lshl_add_u64 v[74:75], s[6:7], 0, v[136:137]
	v_add_co_u32_e32 v74, vcc, s26, v74
	v_mov_b32_e32 v150, v136
	s_nop 0
	v_addc_co_u32_e32 v75, vcc, 0, v75, vcc
	global_load_dwordx4 v[136:139], v[74:75], off offset:1504
	v_add_f64 v[72:73], v[14:15], -v[72:73]
	v_fma_f64 v[14:15], v[14:15], 2.0, -v[72:73]
	v_accvgpr_write_b32 a30, v150
	s_waitcnt vmcnt(0) lgkmcnt(4)
	v_mul_f64 v[74:75], v[70:71], v[138:139]
	v_fma_f64 v[74:75], v[68:69], v[136:137], -v[74:75]
	v_mul_f64 v[68:69], v[68:69], v[138:139]
	v_fmac_f64_e32 v[68:69], v[70:71], v[136:137]
	v_mul_u32_u24_sdwa v70, v125, s37 dst_sel:DWORD dst_unused:UNUSED_PAD src0_sel:WORD_0 src1_sel:DWORD
	v_lshrrev_b32_e32 v70, 22, v70
	v_mul_lo_u16_e32 v70, 0x168, v70
	v_sub_u16_e32 v70, v125, v70
	v_lshlrev_b32_e32 v124, 4, v70
	v_mov_b32_e32 v125, v241
	v_lshl_add_u64 v[70:71], s[6:7], 0, v[124:125]
	v_add_co_u32_e32 v70, vcc, s26, v70
	v_accvgpr_write_b32 a4, v136
	s_nop 0
	v_addc_co_u32_e32 v71, vcc, 0, v71, vcc
	global_load_dwordx4 v[236:239], v[70:71], off offset:1504
	v_accvgpr_write_b32 a5, v137
	v_accvgpr_write_b32 a6, v138
	;; [unrolled: 1-line block ×3, first 2 shown]
	v_mov_b32_e32 v152, v124
	v_add_f64 v[74:75], v[8:9], -v[74:75]
	v_fma_f64 v[8:9], v[8:9], 2.0, -v[74:75]
	v_accvgpr_write_b32 a226, v152
	s_waitcnt vmcnt(0) lgkmcnt(2)
	v_mul_f64 v[70:71], v[66:67], v[238:239]
	v_fma_f64 v[124:125], v[64:65], v[236:237], -v[70:71]
	v_mul_f64 v[136:137], v[64:65], v[238:239]
	v_mul_u32_u24_sdwa v64, v131, s37 dst_sel:DWORD dst_unused:UNUSED_PAD src0_sel:WORD_0 src1_sel:DWORD
	v_lshrrev_b32_e32 v64, 22, v64
	v_mul_lo_u16_e32 v64, 0x168, v64
	v_sub_u16_e32 v64, v131, v64
	v_fmac_f64_e32 v[136:137], v[66:67], v[236:237]
	v_lshlrev_b32_e32 v66, 4, v64
	v_mov_b32_e32 v67, v241
	v_lshl_add_u64 v[64:65], s[6:7], 0, v[66:67]
	v_add_co_u32_e32 v64, vcc, s26, v64
	v_mov_b32_e32 v154, v66
	s_nop 0
	v_addc_co_u32_e32 v65, vcc, 0, v65, vcc
	global_load_dwordx4 v[228:231], v[64:65], off offset:1504
	v_add_f64 v[66:67], v[54:55], -v[116:117]
	v_add_f64 v[116:117], v[50:51], -v[112:113]
	s_movk_i32 s37, 0x47
	v_fma_f64 v[54:55], v[54:55], 2.0, -v[66:67]
	v_fma_f64 v[50:51], v[50:51], 2.0, -v[116:117]
	s_waitcnt lgkmcnt(0)
	s_barrier
	v_cmp_lt_u16_e32 vcc, s37, v178
	v_add_f64 v[112:113], v[46:47], -v[104:105]
	v_add_f64 v[104:105], v[40:41], -v[106:107]
	;; [unrolled: 1-line block ×6, first 2 shown]
	v_fma_f64 v[46:47], v[46:47], 2.0, -v[112:113]
	v_fma_f64 v[40:41], v[40:41], 2.0, -v[104:105]
	;; [unrolled: 1-line block ×3, first 2 shown]
	v_add_f64 v[98:99], v[34:35], -v[92:93]
	v_fma_f64 v[32:33], v[32:33], 2.0, -v[96:97]
	s_movk_i32 s37, 0x2d0
	v_fma_f64 v[36:37], v[36:37], 2.0, -v[100:101]
	v_fma_f64 v[38:39], v[38:39], 2.0, -v[102:103]
	;; [unrolled: 1-line block ×3, first 2 shown]
	v_add_f64 v[92:93], v[28:29], -v[94:95]
	v_add_f64 v[94:95], v[30:31], -v[88:89]
	v_add_f64 v[88:89], v[24:25], -v[90:91]
	v_add_f64 v[90:91], v[26:27], -v[84:85]
	v_add_f64 v[84:85], v[20:21], -v[86:87]
	v_add_f64 v[86:87], v[22:23], -v[80:81]
	v_add_f64 v[80:81], v[16:17], -v[82:83]
	v_add_f64 v[82:83], v[18:19], -v[76:77]
	v_fma_f64 v[28:29], v[28:29], 2.0, -v[92:93]
	v_fma_f64 v[30:31], v[30:31], 2.0, -v[94:95]
	;; [unrolled: 1-line block ×8, first 2 shown]
	v_add_f64 v[70:71], v[12:13], -v[78:79]
	v_add_f64 v[76:77], v[10:11], -v[68:69]
	;; [unrolled: 1-line block ×3, first 2 shown]
	v_fma_f64 v[12:13], v[12:13], 2.0, -v[70:71]
	v_fma_f64 v[10:11], v[10:11], 2.0, -v[76:77]
	;; [unrolled: 1-line block ×3, first 2 shown]
	v_accvgpr_write_b32 a136, v154
	s_waitcnt vmcnt(0)
	v_mul_f64 v[64:65], v[62:63], v[230:231]
	v_mul_f64 v[140:141], v[60:61], v[230:231]
	v_fma_f64 v[138:139], v[60:61], v[228:229], -v[64:65]
	v_fmac_f64_e32 v[140:141], v[62:63], v[228:229]
	v_add_f64 v[60:61], v[56:57], -v[134:135]
	v_add_f64 v[62:63], v[58:59], -v[132:133]
	v_fma_f64 v[56:57], v[56:57], 2.0, -v[60:61]
	v_fma_f64 v[58:59], v[58:59], 2.0, -v[62:63]
	v_add_f64 v[64:65], v[52:53], -v[118:119]
	v_fma_f64 v[52:53], v[52:53], 2.0, -v[64:65]
	ds_write_b128 v240, v[56:59]
	ds_write_b128 v240, v[60:63] offset:5760
	ds_write_b128 v240, v[52:55] offset:1536
	;; [unrolled: 1-line block ×5, first 2 shown]
	v_mov_b32_e32 v48, 0x2d0
	v_cndmask_b32_e32 v48, 0, v48, vcc
	v_add_lshl_u32 v48, v108, v48, 4
	ds_write_b128 v48, v[44:47]
	ds_write_b128 v48, v[110:113] offset:5760
	ds_write_b128 v240, v[40:43] offset:11904
	;; [unrolled: 1-line block ×7, first 2 shown]
	v_mad_legacy_u16 v32, v109, s37, v128
	v_lshlrev_b32_e32 v32, 4, v32
	v_add_f64 v[132:133], v[6:7], -v[136:137]
	v_add_f64 v[134:135], v[0:1], -v[138:139]
	;; [unrolled: 1-line block ×3, first 2 shown]
	ds_write_b128 v32, v[28:31]
	ds_write_b128 v32, v[92:95] offset:5760
	ds_write_b128 v144, v[24:27] offset:23040
	;; [unrolled: 1-line block ×7, first 2 shown]
	v_mad_legacy_u16 v16, v129, s37, v142
	v_fma_f64 v[6:7], v[6:7], 2.0, -v[132:133]
	v_fma_f64 v[0:1], v[0:1], 2.0, -v[134:135]
	;; [unrolled: 1-line block ×3, first 2 shown]
	v_lshlrev_b32_e32 v16, 4, v16
	v_accvgpr_write_b32 a25, v48
	v_accvgpr_write_b32 a31, v32
	ds_write_b128 v16, v[12:15]
	ds_write_b128 v16, v[70:73] offset:5760
	v_accvgpr_write_b32 a137, v16
	ds_write_b128 v150, v[8:11] offset:34560
	ds_write_b128 v150, v[74:77] offset:40320
	;; [unrolled: 1-line block ×6, first 2 shown]
	s_waitcnt lgkmcnt(0)
	s_barrier
	ds_read_b128 v[56:59], v240
	ds_read_b128 v[116:119], v240 offset:23040
	ds_read_b128 v[52:55], v240 offset:1536
	;; [unrolled: 1-line block ×29, first 2 shown]
	global_load_dwordx4 v[134:137], v[122:123], off offset:3168
	s_waitcnt vmcnt(0) lgkmcnt(14)
	v_mul_f64 v[124:125], v[118:119], v[136:137]
	v_fma_f64 v[132:133], v[116:117], v[134:135], -v[124:125]
	v_add_co_u32_e32 v124, vcc, s31, v120
	s_nop 1
	v_addc_co_u32_e32 v125, vcc, 0, v121, vcc
	global_load_dwordx4 v[232:235], v[124:125], off offset:1376
	v_mul_f64 v[130:131], v[116:117], v[136:137]
	v_accvgpr_write_b32 a20, v134
	v_fmac_f64_e32 v[130:131], v[118:119], v[134:135]
	v_accvgpr_write_b32 a21, v135
	v_accvgpr_write_b32 a22, v136
	;; [unrolled: 1-line block ×3, first 2 shown]
	global_load_dwordx4 v[134:137], v[124:125], off offset:608
	global_load_dwordx4 v[224:227], v[124:125], off offset:2912
	s_waitcnt vmcnt(1)
	v_mul_f64 v[116:117], v[114:115], v[136:137]
	v_fma_f64 v[118:119], v[112:113], v[134:135], -v[116:117]
	v_mul_f64 v[116:117], v[112:113], v[136:137]
	v_accvgpr_write_b32 a32, v134
	v_fmac_f64_e32 v[116:117], v[114:115], v[134:135]
	v_accvgpr_write_b32 a33, v135
	v_accvgpr_write_b32 a34, v136
	;; [unrolled: 1-line block ×3, first 2 shown]
	global_load_dwordx4 v[134:137], v[124:125], off offset:2144
	s_waitcnt vmcnt(0)
	v_mul_f64 v[112:113], v[110:111], v[136:137]
	v_fma_f64 v[114:115], v[108:109], v[134:135], -v[112:113]
	v_mul_f64 v[112:113], v[108:109], v[136:137]
	v_accvgpr_write_b32 a36, v134
	v_fmac_f64_e32 v[112:113], v[110:111], v[134:135]
	v_accvgpr_write_b32 a37, v135
	v_accvgpr_write_b32 a38, v136
	v_accvgpr_write_b32 a39, v137
	global_load_dwordx4 v[134:137], v[124:125], off offset:3680
	v_add_f64 v[114:115], v[48:49], -v[114:115]
	v_fma_f64 v[48:49], v[48:49], 2.0, -v[114:115]
	s_waitcnt vmcnt(0)
	v_mul_f64 v[108:109], v[106:107], v[136:137]
	v_fma_f64 v[110:111], v[104:105], v[134:135], -v[108:109]
	v_mul_f64 v[108:109], v[104:105], v[136:137]
	v_accvgpr_write_b32 a120, v134
	v_fmac_f64_e32 v[108:109], v[106:107], v[134:135]
	v_accvgpr_write_b32 a121, v135
	v_accvgpr_write_b32 a122, v136
	;; [unrolled: 1-line block ×3, first 2 shown]
	v_add_co_u32_e32 v134, vcc, s28, v120
	v_add_f64 v[110:111], v[44:45], -v[110:111]
	s_nop 0
	v_addc_co_u32_e32 v135, vcc, 0, v121, vcc
	global_load_dwordx4 v[136:139], v[134:135], off offset:1120
	v_add_co_u32_e32 v128, vcc, s33, v120
	global_load_dwordx4 v[220:223], v[134:135], off offset:352
	global_load_dwordx4 v[216:219], v[134:135], off offset:1888
	v_addc_co_u32_e32 v129, vcc, 0, v121, vcc
	v_cmp_gt_u16_e32 vcc, 48, v178
	global_load_dwordx4 v[212:215], v[134:135], off offset:3424
	global_load_dwordx4 v[200:203], v[128:129], off offset:864
	v_add_f64 v[124:125], v[54:55], -v[116:117]
	v_add_f64 v[116:117], v[50:51], -v[112:113]
	v_add_f64 v[112:113], v[46:47], -v[108:109]
	v_fma_f64 v[54:55], v[54:55], 2.0, -v[124:125]
	v_fma_f64 v[50:51], v[50:51], 2.0, -v[116:117]
	v_fma_f64 v[44:45], v[44:45], 2.0, -v[110:111]
	v_fma_f64 v[46:47], v[46:47], 2.0, -v[112:113]
	s_waitcnt vmcnt(4)
	v_mul_f64 v[104:105], v[102:103], v[138:139]
	v_fma_f64 v[106:107], v[100:101], v[136:137], -v[104:105]
	v_mul_f64 v[104:105], v[100:101], v[138:139]
	v_accvgpr_write_b32 a40, v136
	v_fmac_f64_e32 v[104:105], v[102:103], v[136:137]
	v_accvgpr_write_b32 a41, v137
	v_accvgpr_write_b32 a42, v138
	;; [unrolled: 1-line block ×3, first 2 shown]
	global_load_dwordx4 v[136:139], v[134:135], off offset:2656
	s_waitcnt vmcnt(1) lgkmcnt(0)
	v_mul_f64 v[134:135], v[60:61], v[202:203]
	v_fmac_f64_e32 v[134:135], v[62:63], v[200:201]
	v_add_f64 v[106:107], v[40:41], -v[106:107]
	v_add_f64 v[108:109], v[42:43], -v[104:105]
	v_fma_f64 v[40:41], v[40:41], 2.0, -v[106:107]
	v_fma_f64 v[42:43], v[42:43], 2.0, -v[108:109]
	s_waitcnt vmcnt(0)
	v_mul_f64 v[100:101], v[98:99], v[138:139]
	v_fma_f64 v[102:103], v[96:97], v[136:137], -v[100:101]
	v_mul_f64 v[100:101], v[96:97], v[138:139]
	v_accvgpr_write_b32 a112, v136
	v_fmac_f64_e32 v[100:101], v[98:99], v[136:137]
	v_accvgpr_write_b32 a113, v137
	v_accvgpr_write_b32 a114, v138
	;; [unrolled: 1-line block ×3, first 2 shown]
	global_load_dwordx4 v[136:139], v[128:129], off offset:96
	v_add_f64 v[102:103], v[36:37], -v[102:103]
	v_add_f64 v[104:105], v[38:39], -v[100:101]
	v_fma_f64 v[36:37], v[36:37], 2.0, -v[102:103]
	v_fma_f64 v[38:39], v[38:39], 2.0, -v[104:105]
	s_waitcnt vmcnt(0)
	v_mul_f64 v[96:97], v[94:95], v[138:139]
	v_fma_f64 v[98:99], v[92:93], v[136:137], -v[96:97]
	v_mul_f64 v[96:97], v[92:93], v[138:139]
	v_lshl_add_u64 v[92:93], v[178:179], 0, s[38:39]
	v_cndmask_b32_e32 v93, v93, v127, vcc
	v_cndmask_b32_e32 v92, v92, v126, vcc
	v_fmac_f64_e32 v[96:97], v[94:95], v[136:137]
	v_lshl_add_u64 v[94:95], v[92:93], 4, s[6:7]
	v_add_co_u32_e32 v94, vcc, s27, v94
	v_accvgpr_write_b32 a116, v136
	s_nop 0
	v_addc_co_u32_e32 v95, vcc, 0, v95, vcc
	v_accvgpr_write_b32 a117, v137
	v_accvgpr_write_b32 a118, v138
	;; [unrolled: 1-line block ×3, first 2 shown]
	global_load_dwordx4 v[136:139], v[94:95], off offset:3168
	v_add_f64 v[98:99], v[32:33], -v[98:99]
	v_add_f64 v[100:101], v[34:35], -v[96:97]
	v_fma_f64 v[32:33], v[32:33], 2.0, -v[98:99]
	v_fma_f64 v[34:35], v[34:35], 2.0, -v[100:101]
	v_cmp_lt_u16_e32 vcc, 47, v178
	s_waitcnt vmcnt(0)
	v_mul_f64 v[94:95], v[90:91], v[138:139]
	v_fma_f64 v[94:95], v[88:89], v[136:137], -v[94:95]
	v_mul_f64 v[88:89], v[88:89], v[138:139]
	v_accvgpr_write_b32 a44, v136
	v_fmac_f64_e32 v[88:89], v[90:91], v[136:137]
	v_accvgpr_write_b32 a45, v137
	v_accvgpr_write_b32 a46, v138
	v_accvgpr_write_b32 a47, v139
	global_load_dwordx4 v[136:139], v[122:123], off offset:3936
	v_add_f64 v[122:123], v[52:53], -v[118:119]
	v_fma_f64 v[52:53], v[52:53], 2.0, -v[122:123]
	s_barrier
	v_add_f64 v[94:95], v[28:29], -v[94:95]
	v_add_f64 v[96:97], v[30:31], -v[88:89]
	v_fma_f64 v[28:29], v[28:29], 2.0, -v[94:95]
	v_fma_f64 v[30:31], v[30:31], 2.0, -v[96:97]
	s_waitcnt vmcnt(0)
	v_mul_f64 v[90:91], v[86:87], v[138:139]
	v_fma_f64 v[90:91], v[84:85], v[136:137], -v[90:91]
	v_mul_f64 v[84:85], v[84:85], v[138:139]
	v_fmac_f64_e32 v[84:85], v[86:87], v[136:137]
	v_mul_f64 v[86:87], v[82:83], v[234:235]
	v_fma_f64 v[86:87], v[80:81], v[232:233], -v[86:87]
	v_mul_f64 v[80:81], v[80:81], v[234:235]
	v_fmac_f64_e32 v[80:81], v[82:83], v[232:233]
	v_mul_f64 v[82:83], v[78:79], v[226:227]
	v_fma_f64 v[82:83], v[76:77], v[224:225], -v[82:83]
	v_mul_f64 v[76:77], v[76:77], v[226:227]
	v_fmac_f64_e32 v[76:77], v[78:79], v[224:225]
	v_mul_f64 v[78:79], v[74:75], v[222:223]
	v_fma_f64 v[78:79], v[72:73], v[220:221], -v[78:79]
	v_mul_f64 v[72:73], v[72:73], v[222:223]
	v_fmac_f64_e32 v[72:73], v[74:75], v[220:221]
	v_mul_f64 v[74:75], v[70:71], v[218:219]
	v_fma_f64 v[74:75], v[68:69], v[216:217], -v[74:75]
	v_mul_f64 v[68:69], v[68:69], v[218:219]
	v_fmac_f64_e32 v[68:69], v[70:71], v[216:217]
	v_mul_f64 v[70:71], v[66:67], v[214:215]
	v_fma_f64 v[70:71], v[64:65], v[212:213], -v[70:71]
	v_mul_f64 v[64:65], v[64:65], v[214:215]
	v_fmac_f64_e32 v[64:65], v[66:67], v[212:213]
	v_mul_f64 v[66:67], v[62:63], v[202:203]
	v_fma_f64 v[126:127], v[60:61], v[200:201], -v[66:67]
	v_add_f64 v[60:61], v[56:57], -v[132:133]
	v_add_f64 v[62:63], v[58:59], -v[130:131]
	v_fma_f64 v[56:57], v[56:57], 2.0, -v[60:61]
	v_fma_f64 v[58:59], v[58:59], 2.0, -v[62:63]
	ds_write_b128 v240, v[56:59]
	ds_write_b128 v240, v[60:63] offset:11520
	ds_write_b128 v240, v[52:55] offset:1536
	;; [unrolled: 1-line block ×13, first 2 shown]
	v_mov_b32_e32 v32, 0x5a0
	v_add_f64 v[88:89], v[24:25], -v[90:91]
	v_add_f64 v[90:91], v[26:27], -v[84:85]
	;; [unrolled: 1-line block ×14, first 2 shown]
	v_cndmask_b32_e32 v32, 0, v32, vcc
	v_fma_f64 v[24:25], v[24:25], 2.0, -v[88:89]
	v_fma_f64 v[26:27], v[26:27], 2.0, -v[90:91]
	;; [unrolled: 1-line block ×14, first 2 shown]
	v_add_lshl_u32 v179, v92, v32, 4
	ds_write_b128 v179, v[28:31]
	ds_write_b128 v179, v[94:97] offset:11520
	ds_write_b128 v240, v[24:27] offset:23808
	;; [unrolled: 1-line block ×15, first 2 shown]
	s_waitcnt lgkmcnt(0)
	s_barrier
	ds_read_b128 v[56:59], v240
	ds_read_b128 v[116:119], v240 offset:23040
	ds_read_b128 v[52:55], v240 offset:1536
	;; [unrolled: 1-line block ×29, first 2 shown]
	global_load_dwordx4 v[208:211], v[128:129], off offset:2400
	global_load_dwordx4 v[204:207], v[128:129], off offset:3936
	v_accvgpr_write_b32 a0, v136
	v_accvgpr_write_b32 a1, v137
	v_accvgpr_write_b32 a2, v138
	v_accvgpr_write_b32 a3, v139
	s_waitcnt vmcnt(1) lgkmcnt(14)
	v_mul_f64 v[122:123], v[118:119], v[210:211]
	v_fma_f64 v[122:123], v[116:117], v[208:209], -v[122:123]
	v_mul_f64 v[116:117], v[116:117], v[210:211]
	v_fmac_f64_e32 v[116:117], v[118:119], v[208:209]
	s_waitcnt vmcnt(0)
	v_mul_f64 v[118:119], v[114:115], v[206:207]
	v_fma_f64 v[124:125], v[112:113], v[204:205], -v[118:119]
	v_mul_f64 v[118:119], v[112:113], v[206:207]
	v_fmac_f64_e32 v[118:119], v[114:115], v[204:205]
	v_add_co_u32_e32 v114, vcc, s34, v120
	s_nop 1
	v_addc_co_u32_e32 v115, vcc, 0, v121, vcc
	global_load_dwordx4 v[196:199], v[114:115], off offset:1376
	v_add_co_u32_e32 v126, vcc, s35, v120
	global_load_dwordx4 v[192:195], v[114:115], off offset:2912
	s_nop 0
	v_addc_co_u32_e32 v127, vcc, 0, v121, vcc
	global_load_dwordx4 v[188:191], v[126:127], off offset:352
	global_load_dwordx4 v[184:187], v[126:127], off offset:1888
	global_load_dwordx4 v[180:183], v[126:127], off offset:3424
	v_add_co_u32_e32 v126, vcc, s29, v120
	s_waitcnt vmcnt(4)
	v_mul_f64 v[112:113], v[110:111], v[198:199]
	v_addc_co_u32_e32 v127, vcc, 0, v121, vcc
	global_load_dwordx4 v[170:173], v[126:127], off offset:2400
	global_load_dwordx4 v[174:177], v[126:127], off offset:864
	;; [unrolled: 1-line block ×3, first 2 shown]
	v_fma_f64 v[112:113], v[108:109], v[196:197], -v[112:113]
	v_mul_f64 v[108:109], v[108:109], v[198:199]
	v_fmac_f64_e32 v[108:109], v[110:111], v[196:197]
	s_waitcnt vmcnt(6)
	v_mul_f64 v[110:111], v[106:107], v[194:195]
	v_fma_f64 v[114:115], v[104:105], v[192:193], -v[110:111]
	v_mul_f64 v[110:111], v[104:105], v[194:195]
	s_waitcnt vmcnt(5)
	v_mul_f64 v[104:105], v[102:103], v[190:191]
	v_fma_f64 v[104:105], v[100:101], v[188:189], -v[104:105]
	v_mul_f64 v[100:101], v[100:101], v[190:191]
	v_fmac_f64_e32 v[100:101], v[102:103], v[188:189]
	s_waitcnt vmcnt(4)
	v_mul_f64 v[102:103], v[98:99], v[186:187]
	v_fmac_f64_e32 v[110:111], v[106:107], v[192:193]
	v_fma_f64 v[106:107], v[96:97], v[184:185], -v[102:103]
	v_mul_f64 v[102:103], v[96:97], v[186:187]
	s_waitcnt vmcnt(3)
	v_mul_f64 v[96:97], v[94:95], v[182:183]
	v_fma_f64 v[96:97], v[92:93], v[180:181], -v[96:97]
	v_mul_f64 v[92:93], v[92:93], v[182:183]
	v_fmac_f64_e32 v[92:93], v[94:95], v[180:181]
	v_fmac_f64_e32 v[102:103], v[98:99], v[184:185]
	v_add_f64 v[102:103], v[38:39], -v[102:103]
	v_fma_f64 v[38:39], v[38:39], 2.0, -v[102:103]
	s_waitcnt vmcnt(1)
	v_mul_f64 v[94:95], v[90:91], v[176:177]
	v_fma_f64 v[98:99], v[88:89], v[174:175], -v[94:95]
	v_mul_f64 v[94:95], v[88:89], v[176:177]
	s_waitcnt lgkmcnt(12)
	v_mul_f64 v[88:89], v[86:87], v[172:173]
	v_fma_f64 v[88:89], v[84:85], v[170:171], -v[88:89]
	v_mul_f64 v[84:85], v[84:85], v[172:173]
	v_fmac_f64_e32 v[84:85], v[86:87], v[170:171]
	s_waitcnt vmcnt(0) lgkmcnt(10)
	v_mul_f64 v[86:87], v[82:83], v[168:169]
	v_fmac_f64_e32 v[94:95], v[90:91], v[174:175]
	v_fma_f64 v[90:91], v[80:81], v[166:167], -v[86:87]
	v_mul_f64 v[86:87], v[80:81], v[168:169]
	v_fmac_f64_e32 v[86:87], v[82:83], v[166:167]
	v_add_co_u32_e32 v82, vcc, s30, v120
	v_add_f64 v[94:95], v[30:31], -v[94:95]
	s_nop 0
	v_addc_co_u32_e32 v83, vcc, 0, v121, vcc
	global_load_dwordx4 v[162:165], v[82:83], off offset:1376
	global_load_dwordx4 v[158:161], v[82:83], off offset:2912
	v_add_f64 v[84:85], v[26:27], -v[84:85]
	v_fma_f64 v[30:31], v[30:31], 2.0, -v[94:95]
	v_fma_f64 v[26:27], v[26:27], 2.0, -v[84:85]
	s_waitcnt vmcnt(1) lgkmcnt(8)
	v_mul_f64 v[80:81], v[78:79], v[164:165]
	v_fma_f64 v[80:81], v[76:77], v[162:163], -v[80:81]
	v_mul_f64 v[76:77], v[76:77], v[164:165]
	v_fmac_f64_e32 v[76:77], v[78:79], v[162:163]
	s_waitcnt vmcnt(0) lgkmcnt(6)
	v_mul_f64 v[78:79], v[74:75], v[160:161]
	v_fma_f64 v[126:127], v[72:73], v[158:159], -v[78:79]
	v_mul_f64 v[128:129], v[72:73], v[160:161]
	v_add_co_u32_e32 v72, vcc, s36, v120
	v_fmac_f64_e32 v[128:129], v[74:75], v[158:159]
	s_nop 0
	v_addc_co_u32_e32 v73, vcc, 0, v121, vcc
	global_load_dwordx4 v[146:149], v[72:73], off offset:3424
	global_load_dwordx4 v[154:157], v[72:73], off offset:352
	;; [unrolled: 1-line block ×3, first 2 shown]
	v_add_f64 v[72:73], v[44:45], -v[114:115]
	v_add_f64 v[82:83], v[24:25], -v[88:89]
	;; [unrolled: 1-line block ×6, first 2 shown]
	v_fma_f64 v[44:45], v[44:45], 2.0, -v[72:73]
	v_fma_f64 v[24:25], v[24:25], 2.0, -v[82:83]
	;; [unrolled: 1-line block ×6, first 2 shown]
	s_waitcnt vmcnt(2) lgkmcnt(0)
	v_mul_f64 v[138:139], v[60:61], v[148:149]
	s_waitcnt vmcnt(1)
	v_mul_f64 v[74:75], v[70:71], v[156:157]
	v_fma_f64 v[120:121], v[68:69], v[154:155], -v[74:75]
	v_mul_f64 v[130:131], v[68:69], v[156:157]
	s_waitcnt vmcnt(0)
	v_mul_f64 v[68:69], v[66:67], v[152:153]
	v_fma_f64 v[132:133], v[64:65], v[150:151], -v[68:69]
	v_mul_f64 v[134:135], v[64:65], v[152:153]
	v_mul_f64 v[64:65], v[62:63], v[148:149]
	v_fmac_f64_e32 v[130:131], v[70:71], v[154:155]
	v_fma_f64 v[136:137], v[60:61], v[146:147], -v[64:65]
	v_fmac_f64_e32 v[138:139], v[62:63], v[146:147]
	v_fmac_f64_e32 v[134:135], v[66:67], v[150:151]
	v_add_f64 v[60:61], v[56:57], -v[122:123]
	v_add_f64 v[62:63], v[58:59], -v[116:117]
	;; [unrolled: 1-line block ×7, first 2 shown]
	v_fma_f64 v[56:57], v[56:57], 2.0, -v[60:61]
	v_fma_f64 v[58:59], v[58:59], 2.0, -v[62:63]
	v_add_f64 v[64:65], v[52:53], -v[124:125]
	v_add_f64 v[66:67], v[54:55], -v[118:119]
	;; [unrolled: 1-line block ×12, first 2 shown]
	v_fma_f64 v[8:9], v[8:9], 2.0, -v[112:113]
	v_fma_f64 v[10:11], v[10:11], 2.0, -v[114:115]
	v_add_f64 v[116:117], v[4:5], -v[132:133]
	v_add_f64 v[118:119], v[6:7], -v[134:135]
	v_fma_f64 v[0:1], v[0:1], 2.0, -v[120:121]
	v_fma_f64 v[2:3], v[2:3], 2.0, -v[122:123]
	;; [unrolled: 1-line block ×17, first 2 shown]
	ds_write_b128 v240, v[56:59]
	ds_write_b128 v240, v[60:63] offset:23040
	ds_write_b128 v240, v[52:55] offset:1536
	;; [unrolled: 1-line block ×29, first 2 shown]
	s_waitcnt lgkmcnt(0)
	s_barrier
	ds_read_b128 v[0:3], v240
	global_load_dwordx4 v[8:11], v240, s[24:25]
	v_lshl_add_u64 v[6:7], s[24:25], 0, v[240:241]
	s_waitcnt vmcnt(0) lgkmcnt(0)
	v_mul_f64 v[4:5], v[2:3], v[10:11]
	v_mul_f64 v[14:15], v[0:1], v[10:11]
	v_add_co_u32_e32 v10, vcc, s26, v6
	v_fma_f64 v[12:13], v[0:1], v[8:9], -v[4:5]
	v_fmac_f64_e32 v[14:15], v[2:3], v[8:9]
	v_addc_co_u32_e32 v11, vcc, 0, v7, vcc
	ds_write_b128 v240, v[12:15]
	global_load_dwordx4 v[12:15], v[10:11], off offset:512
	ds_read_b128 v[0:3], v240 offset:4608
	v_add_co_u32_e32 v8, vcc, s27, v6
	s_waitcnt vmcnt(0) lgkmcnt(0)
	v_mul_f64 v[4:5], v[2:3], v[14:15]
	v_mul_f64 v[18:19], v[0:1], v[14:15]
	v_addc_co_u32_e32 v9, vcc, 0, v7, vcc
	v_fma_f64 v[16:17], v[0:1], v[12:13], -v[4:5]
	v_fmac_f64_e32 v[18:19], v[2:3], v[12:13]
	global_load_dwordx4 v[12:15], v[8:9], off offset:1024
	ds_read_b128 v[0:3], v240 offset:9216
	ds_write_b128 v240, v[16:19] offset:4608
	s_waitcnt vmcnt(0) lgkmcnt(1)
	v_mul_f64 v[4:5], v[2:3], v[14:15]
	v_mul_f64 v[18:19], v[0:1], v[14:15]
	v_fma_f64 v[16:17], v[0:1], v[12:13], -v[4:5]
	v_fmac_f64_e32 v[18:19], v[2:3], v[12:13]
	ds_write_b128 v240, v[16:19] offset:9216
	v_add_co_u32_e32 v16, vcc, s31, v6
	ds_read_b128 v[0:3], v240 offset:13824
	s_nop 0
	v_addc_co_u32_e32 v17, vcc, 0, v7, vcc
	global_load_dwordx4 v[12:15], v[16:17], off offset:1536
	s_waitcnt vmcnt(0) lgkmcnt(0)
	v_mul_f64 v[4:5], v[2:3], v[14:15]
	v_mul_f64 v[20:21], v[0:1], v[14:15]
	v_fma_f64 v[18:19], v[0:1], v[12:13], -v[4:5]
	v_fmac_f64_e32 v[20:21], v[2:3], v[12:13]
	global_load_dwordx4 v[12:15], v250, s[24:25]
	ds_read_b128 v[0:3], v240 offset:18432
	ds_write_b128 v240, v[18:21] offset:13824
	s_waitcnt vmcnt(0) lgkmcnt(1)
	v_mul_f64 v[4:5], v[2:3], v[14:15]
	v_mul_f64 v[20:21], v[0:1], v[14:15]
	v_fma_f64 v[18:19], v[0:1], v[12:13], -v[4:5]
	v_fmac_f64_e32 v[20:21], v[2:3], v[12:13]
	v_add_co_u32_e32 v12, vcc, s33, v6
	ds_write_b128 v240, v[18:21] offset:18432
	s_nop 0
	v_addc_co_u32_e32 v13, vcc, 0, v7, vcc
	global_load_dwordx4 v[18:21], v[12:13], off offset:2560
	ds_read_b128 v[0:3], v240 offset:23040
	v_add_co_u32_e32 v14, vcc, s34, v6
	s_waitcnt vmcnt(0) lgkmcnt(0)
	v_mul_f64 v[4:5], v[2:3], v[20:21]
	v_mul_f64 v[24:25], v[0:1], v[20:21]
	v_addc_co_u32_e32 v15, vcc, 0, v7, vcc
	v_fma_f64 v[22:23], v[0:1], v[18:19], -v[4:5]
	v_fmac_f64_e32 v[24:25], v[2:3], v[18:19]
	global_load_dwordx4 v[18:21], v[14:15], off offset:3072
	ds_read_b128 v[0:3], v240 offset:27648
	ds_write_b128 v240, v[22:25] offset:23040
	s_waitcnt vmcnt(0) lgkmcnt(1)
	v_mul_f64 v[4:5], v[2:3], v[20:21]
	v_mul_f64 v[24:25], v[0:1], v[20:21]
	v_fma_f64 v[22:23], v[0:1], v[18:19], -v[4:5]
	v_fmac_f64_e32 v[24:25], v[2:3], v[18:19]
	v_add_co_u32_e32 v18, vcc, s35, v6
	ds_write_b128 v240, v[22:25] offset:27648
	s_nop 0
	v_addc_co_u32_e32 v19, vcc, 0, v7, vcc
	global_load_dwordx4 v[20:23], v[18:19], off offset:3584
	ds_read_b128 v[0:3], v240 offset:32256
	s_waitcnt vmcnt(0) lgkmcnt(0)
	v_mul_f64 v[4:5], v[2:3], v[22:23]
	v_mul_f64 v[26:27], v[0:1], v[22:23]
	v_fma_f64 v[24:25], v[0:1], v[20:21], -v[4:5]
	v_fmac_f64_e32 v[26:27], v[2:3], v[20:21]
	global_load_dwordx4 v[20:23], v252, s[24:25]
	ds_read_b128 v[0:3], v240 offset:36864
	ds_write_b128 v240, v[24:27] offset:32256
	s_waitcnt vmcnt(0) lgkmcnt(1)
	v_mul_f64 v[4:5], v[2:3], v[22:23]
	v_fma_f64 v[24:25], v[0:1], v[20:21], -v[4:5]
	v_add_co_u32_e32 v4, vcc, s36, v6
	v_mul_f64 v[26:27], v[0:1], v[22:23]
	s_nop 0
	v_addc_co_u32_e32 v5, vcc, 0, v7, vcc
	v_fmac_f64_e32 v[26:27], v[2:3], v[20:21]
	global_load_dwordx4 v[20:23], v[4:5], off offset:512
	ds_read_b128 v[0:3], v240 offset:41472
	ds_write_b128 v240, v[24:27] offset:36864
	v_add_co_u32_e32 v28, vcc, s28, v6
	s_waitcnt vmcnt(0) lgkmcnt(1)
	v_mul_f64 v[24:25], v[2:3], v[22:23]
	v_mul_f64 v[26:27], v[0:1], v[22:23]
	v_fma_f64 v[24:25], v[0:1], v[20:21], -v[24:25]
	v_fmac_f64_e32 v[26:27], v[2:3], v[20:21]
	ds_read_b128 v[0:3], v240 offset:1536
	global_load_dwordx4 v[20:23], v240, s[24:25] offset:1536
	ds_write_b128 v240, v[24:27] offset:41472
	v_addc_co_u32_e32 v29, vcc, 0, v7, vcc
	s_waitcnt vmcnt(0) lgkmcnt(1)
	v_mul_f64 v[24:25], v[2:3], v[22:23]
	v_mul_f64 v[26:27], v[0:1], v[22:23]
	v_fma_f64 v[24:25], v[0:1], v[20:21], -v[24:25]
	v_fmac_f64_e32 v[26:27], v[2:3], v[20:21]
	global_load_dwordx4 v[20:23], v251, s[24:25]
	ds_read_b128 v[0:3], v240 offset:6144
	ds_write_b128 v240, v[24:27] offset:1536
	s_waitcnt vmcnt(0) lgkmcnt(1)
	v_mul_f64 v[24:25], v[2:3], v[22:23]
	v_mul_f64 v[26:27], v[0:1], v[22:23]
	v_fma_f64 v[24:25], v[0:1], v[20:21], -v[24:25]
	v_fmac_f64_e32 v[26:27], v[2:3], v[20:21]
	global_load_dwordx4 v[20:23], v[8:9], off offset:2560
	ds_read_b128 v[0:3], v240 offset:10752
	ds_write_b128 v240, v[24:27] offset:6144
	s_waitcnt vmcnt(0) lgkmcnt(1)
	v_mul_f64 v[8:9], v[2:3], v[22:23]
	v_mul_f64 v[26:27], v[0:1], v[22:23]
	v_fma_f64 v[24:25], v[0:1], v[20:21], -v[8:9]
	v_fmac_f64_e32 v[26:27], v[2:3], v[20:21]
	global_load_dwordx4 v[20:23], v[16:17], off offset:3072
	ds_read_b128 v[0:3], v240 offset:15360
	ds_write_b128 v240, v[24:27] offset:10752
	global_load_dwordx4 v[16:19], v[18:19], off offset:512
	s_waitcnt vmcnt(1) lgkmcnt(1)
	v_mul_f64 v[8:9], v[2:3], v[22:23]
	v_mul_f64 v[26:27], v[0:1], v[22:23]
	v_fma_f64 v[24:25], v[0:1], v[20:21], -v[8:9]
	v_fmac_f64_e32 v[26:27], v[2:3], v[20:21]
	global_load_dwordx4 v[20:23], v[28:29], off offset:3584
	ds_read_b128 v[0:3], v240 offset:19968
	ds_write_b128 v240, v[24:27] offset:15360
	s_waitcnt vmcnt(0) lgkmcnt(1)
	v_mul_f64 v[8:9], v[2:3], v[22:23]
	v_mul_f64 v[26:27], v[0:1], v[22:23]
	v_fma_f64 v[24:25], v[0:1], v[20:21], -v[8:9]
	v_fmac_f64_e32 v[26:27], v[2:3], v[20:21]
	global_load_dwordx4 v[20:23], v254, s[24:25]
	ds_read_b128 v[0:3], v240 offset:24576
	ds_write_b128 v240, v[24:27] offset:19968
	s_waitcnt vmcnt(0) lgkmcnt(1)
	v_mul_f64 v[8:9], v[2:3], v[22:23]
	v_mul_f64 v[26:27], v[0:1], v[22:23]
	v_fma_f64 v[24:25], v[0:1], v[20:21], -v[8:9]
	v_fmac_f64_e32 v[26:27], v[2:3], v[20:21]
	ds_read_b128 v[0:3], v240 offset:29184
	ds_write_b128 v240, v[24:27] offset:24576
	s_waitcnt lgkmcnt(1)
	v_mul_f64 v[8:9], v[2:3], v[18:19]
	v_fma_f64 v[20:21], v[0:1], v[16:17], -v[8:9]
	v_add_co_u32_e32 v8, vcc, s29, v6
	v_mul_f64 v[22:23], v[0:1], v[18:19]
	s_nop 0
	v_addc_co_u32_e32 v9, vcc, 0, v7, vcc
	v_fmac_f64_e32 v[22:23], v[2:3], v[16:17]
	global_load_dwordx4 v[16:19], v[8:9], off offset:1024
	ds_read_b128 v[0:3], v240 offset:33792
	v_add_co_u32_e32 v6, vcc, s30, v6
	ds_write_b128 v240, v[20:23] offset:29184
	s_nop 0
	v_addc_co_u32_e32 v7, vcc, 0, v7, vcc
	s_waitcnt vmcnt(0) lgkmcnt(1)
	v_mul_f64 v[20:21], v[2:3], v[18:19]
	v_mul_f64 v[22:23], v[0:1], v[18:19]
	v_fma_f64 v[20:21], v[0:1], v[16:17], -v[20:21]
	v_fmac_f64_e32 v[22:23], v[2:3], v[16:17]
	global_load_dwordx4 v[16:19], v[6:7], off offset:1536
	ds_read_b128 v[0:3], v240 offset:38400
	ds_write_b128 v240, v[20:23] offset:33792
	s_waitcnt vmcnt(0) lgkmcnt(1)
	v_mul_f64 v[20:21], v[2:3], v[18:19]
	v_mul_f64 v[22:23], v[0:1], v[18:19]
	v_fma_f64 v[20:21], v[0:1], v[16:17], -v[20:21]
	v_fmac_f64_e32 v[22:23], v[2:3], v[16:17]
	global_load_dwordx4 v[16:19], v249, s[24:25]
	ds_read_b128 v[0:3], v240 offset:43008
	ds_write_b128 v240, v[20:23] offset:38400
	s_waitcnt vmcnt(0) lgkmcnt(1)
	v_mul_f64 v[20:21], v[2:3], v[18:19]
	v_mul_f64 v[22:23], v[0:1], v[18:19]
	v_fma_f64 v[20:21], v[0:1], v[16:17], -v[20:21]
	v_fmac_f64_e32 v[22:23], v[2:3], v[16:17]
	ds_read_b128 v[0:3], v240 offset:3072
	global_load_dwordx4 v[16:19], v240, s[24:25] offset:3072
	ds_write_b128 v240, v[20:23] offset:43008
	s_waitcnt vmcnt(0) lgkmcnt(1)
	v_mul_f64 v[20:21], v[2:3], v[18:19]
	v_mul_f64 v[22:23], v[0:1], v[18:19]
	v_fma_f64 v[20:21], v[0:1], v[16:17], -v[20:21]
	v_fmac_f64_e32 v[22:23], v[2:3], v[16:17]
	global_load_dwordx4 v[16:19], v[10:11], off offset:3584
	ds_read_b128 v[0:3], v240 offset:7680
	ds_write_b128 v240, v[20:23] offset:3072
	s_waitcnt vmcnt(0) lgkmcnt(1)
	v_mul_f64 v[10:11], v[2:3], v[18:19]
	v_mul_f64 v[22:23], v[0:1], v[18:19]
	v_fma_f64 v[20:21], v[0:1], v[16:17], -v[10:11]
	v_fmac_f64_e32 v[22:23], v[2:3], v[16:17]
	global_load_dwordx4 v[16:19], v255, s[24:25]
	ds_read_b128 v[0:3], v240 offset:12288
	ds_write_b128 v240, v[20:23] offset:7680
	s_waitcnt vmcnt(0) lgkmcnt(1)
	v_mul_f64 v[10:11], v[2:3], v[18:19]
	v_mul_f64 v[22:23], v[0:1], v[18:19]
	v_fma_f64 v[20:21], v[0:1], v[16:17], -v[10:11]
	v_fmac_f64_e32 v[22:23], v[2:3], v[16:17]
	global_load_dwordx4 v[16:19], v[28:29], off offset:512
	ds_read_b128 v[0:3], v240 offset:16896
	ds_write_b128 v240, v[20:23] offset:12288
	s_waitcnt vmcnt(0) lgkmcnt(1)
	v_mul_f64 v[10:11], v[2:3], v[18:19]
	v_fma_f64 v[20:21], v[0:1], v[16:17], -v[10:11]
	global_load_dwordx4 v[10:13], v[12:13], off offset:1024
	v_mul_f64 v[22:23], v[0:1], v[18:19]
	v_fmac_f64_e32 v[22:23], v[2:3], v[16:17]
	ds_read_b128 v[0:3], v240 offset:21504
	ds_write_b128 v240, v[20:23] offset:16896
	s_waitcnt vmcnt(0) lgkmcnt(1)
	v_mul_f64 v[16:17], v[2:3], v[12:13]
	v_mul_f64 v[18:19], v[0:1], v[12:13]
	v_fma_f64 v[16:17], v[0:1], v[10:11], -v[16:17]
	v_fmac_f64_e32 v[18:19], v[2:3], v[10:11]
	global_load_dwordx4 v[10:13], v[14:15], off offset:1536
	ds_read_b128 v[0:3], v240 offset:26112
	ds_write_b128 v240, v[16:19] offset:21504
	s_waitcnt vmcnt(0) lgkmcnt(1)
	v_mul_f64 v[14:15], v[2:3], v[12:13]
	v_mul_f64 v[16:17], v[0:1], v[12:13]
	v_fma_f64 v[14:15], v[0:1], v[10:11], -v[14:15]
	v_fmac_f64_e32 v[16:17], v[2:3], v[10:11]
	global_load_dwordx4 v[10:13], v253, s[24:25]
	ds_read_b128 v[0:3], v240 offset:30720
	ds_write_b128 v240, v[14:17] offset:26112
	s_waitcnt vmcnt(0) lgkmcnt(1)
	v_mul_f64 v[14:15], v[2:3], v[12:13]
	v_mul_f64 v[16:17], v[0:1], v[12:13]
	v_fma_f64 v[14:15], v[0:1], v[10:11], -v[14:15]
	v_fmac_f64_e32 v[16:17], v[2:3], v[10:11]
	global_load_dwordx4 v[8:11], v[8:9], off offset:2560
	ds_read_b128 v[0:3], v240 offset:35328
	ds_write_b128 v240, v[14:17] offset:30720
	s_waitcnt vmcnt(0) lgkmcnt(1)
	v_mul_f64 v[12:13], v[2:3], v[10:11]
	v_mul_f64 v[14:15], v[0:1], v[10:11]
	v_fma_f64 v[12:13], v[0:1], v[8:9], -v[12:13]
	v_fmac_f64_e32 v[14:15], v[2:3], v[8:9]
	global_load_dwordx4 v[6:9], v[6:7], off offset:3072
	;; [unrolled: 8-line block ×3, first 2 shown]
	ds_read_b128 v[0:3], v240 offset:44544
	ds_write_b128 v240, v[10:13] offset:39936
	s_waitcnt vmcnt(0) lgkmcnt(1)
	v_mul_f64 v[8:9], v[2:3], v[6:7]
	v_mul_f64 v[10:11], v[0:1], v[6:7]
	v_fma_f64 v[8:9], v[0:1], v[4:5], -v[8:9]
	v_fmac_f64_e32 v[10:11], v[2:3], v[4:5]
	ds_write_b128 v240, v[8:11] offset:44544
	s_waitcnt lgkmcnt(0)
	s_barrier
	ds_read_b128 v[64:67], v240
	ds_read_b128 v[84:87], v240 offset:4608
	ds_read_b128 v[22:25], v240 offset:9216
	;; [unrolled: 1-line block ×29, first 2 shown]
	s_waitcnt lgkmcnt(14)
	v_add_f64 v[16:17], v[64:65], v[22:23]
	v_add_f64 v[16:17], v[16:17], v[126:127]
	;; [unrolled: 1-line block ×5, first 2 shown]
	v_fma_f64 v[16:17], -0.5, v[16:17], v[64:65]
	v_add_f64 v[46:47], v[24:25], -v[136:137]
	v_fma_f64 v[120:121], s[10:11], v[46:47], v[16:17]
	v_add_f64 v[112:113], v[128:129], -v[132:133]
	v_add_f64 v[116:117], v[22:23], -v[126:127]
	;; [unrolled: 1-line block ×3, first 2 shown]
	v_fmac_f64_e32 v[16:17], s[4:5], v[46:47]
	v_fmac_f64_e32 v[120:121], s[12:13], v[112:113]
	v_add_f64 v[116:117], v[116:117], v[118:119]
	v_fmac_f64_e32 v[16:17], s[2:3], v[112:113]
	v_fmac_f64_e32 v[120:121], s[8:9], v[116:117]
	;; [unrolled: 1-line block ×3, first 2 shown]
	v_add_f64 v[116:117], v[22:23], v[134:135]
	v_fmac_f64_e32 v[64:65], -0.5, v[116:117]
	v_fma_f64 v[118:119], s[4:5], v[112:113], v[64:65]
	v_fmac_f64_e32 v[64:65], s[10:11], v[112:113]
	v_fmac_f64_e32 v[118:119], s[12:13], v[46:47]
	v_fmac_f64_e32 v[64:65], s[2:3], v[46:47]
	v_add_f64 v[46:47], v[66:67], v[24:25]
	v_add_f64 v[46:47], v[46:47], v[128:129]
	;; [unrolled: 1-line block ×3, first 2 shown]
	v_add_f64 v[116:117], v[126:127], -v[22:23]
	v_add_f64 v[122:123], v[130:131], -v[134:135]
	v_add_f64 v[124:125], v[46:47], v[136:137]
	v_add_f64 v[46:47], v[128:129], v[132:133]
	;; [unrolled: 1-line block ×3, first 2 shown]
	v_fma_f64 v[46:47], -0.5, v[46:47], v[66:67]
	v_add_f64 v[112:113], v[22:23], -v[134:135]
	v_fmac_f64_e32 v[118:119], s[8:9], v[116:117]
	v_fmac_f64_e32 v[64:65], s[8:9], v[116:117]
	v_fma_f64 v[122:123], s[4:5], v[112:113], v[46:47]
	v_add_f64 v[116:117], v[126:127], -v[130:131]
	v_add_f64 v[22:23], v[24:25], -v[128:129]
	;; [unrolled: 1-line block ×3, first 2 shown]
	v_fmac_f64_e32 v[46:47], s[10:11], v[112:113]
	v_fmac_f64_e32 v[122:123], s[2:3], v[116:117]
	v_add_f64 v[22:23], v[22:23], v[126:127]
	v_fmac_f64_e32 v[46:47], s[12:13], v[116:117]
	v_fmac_f64_e32 v[122:123], s[8:9], v[22:23]
	;; [unrolled: 1-line block ×3, first 2 shown]
	v_add_f64 v[22:23], v[24:25], v[136:137]
	v_fmac_f64_e32 v[66:67], -0.5, v[22:23]
	v_fma_f64 v[22:23], s[10:11], v[116:117], v[66:67]
	v_add_f64 v[24:25], v[128:129], -v[24:25]
	v_add_f64 v[126:127], v[132:133], -v[136:137]
	v_fmac_f64_e32 v[66:67], s[4:5], v[116:117]
	v_fmac_f64_e32 v[22:23], s[2:3], v[112:113]
	v_add_f64 v[24:25], v[24:25], v[126:127]
	v_fmac_f64_e32 v[66:67], s[12:13], v[112:113]
	v_fmac_f64_e32 v[22:23], s[8:9], v[24:25]
	;; [unrolled: 1-line block ×3, first 2 shown]
	v_add_f64 v[24:25], v[84:85], v[88:89]
	v_add_f64 v[24:25], v[24:25], v[92:93]
	;; [unrolled: 1-line block ×5, first 2 shown]
	v_fma_f64 v[116:117], -0.5, v[24:25], v[84:85]
	v_add_f64 v[24:25], v[90:91], -v[102:103]
	v_fma_f64 v[128:129], s[10:11], v[24:25], v[116:117]
	v_add_f64 v[126:127], v[94:95], -v[98:99]
	v_add_f64 v[130:131], v[88:89], -v[92:93]
	;; [unrolled: 1-line block ×3, first 2 shown]
	v_fmac_f64_e32 v[116:117], s[4:5], v[24:25]
	v_fmac_f64_e32 v[128:129], s[12:13], v[126:127]
	v_add_f64 v[130:131], v[130:131], v[132:133]
	v_fmac_f64_e32 v[116:117], s[2:3], v[126:127]
	v_fmac_f64_e32 v[128:129], s[8:9], v[130:131]
	;; [unrolled: 1-line block ×3, first 2 shown]
	v_add_f64 v[130:131], v[88:89], v[100:101]
	v_fmac_f64_e32 v[84:85], -0.5, v[130:131]
	v_fma_f64 v[144:145], s[4:5], v[126:127], v[84:85]
	v_add_f64 v[130:131], v[92:93], -v[88:89]
	v_add_f64 v[132:133], v[96:97], -v[100:101]
	v_fmac_f64_e32 v[84:85], s[10:11], v[126:127]
	v_add_f64 v[126:127], v[94:95], v[98:99]
	v_add_f64 v[130:131], v[130:131], v[132:133]
	v_fma_f64 v[132:133], -0.5, v[126:127], v[86:87]
	v_add_f64 v[88:89], v[88:89], -v[100:101]
	v_fma_f64 v[100:101], s[4:5], v[88:89], v[132:133]
	v_add_f64 v[92:93], v[92:93], -v[96:97]
	v_add_f64 v[96:97], v[90:91], -v[94:95]
	;; [unrolled: 1-line block ×3, first 2 shown]
	v_fmac_f64_e32 v[132:133], s[10:11], v[88:89]
	v_fmac_f64_e32 v[100:101], s[2:3], v[92:93]
	v_add_f64 v[96:97], v[96:97], v[126:127]
	v_fmac_f64_e32 v[132:133], s[12:13], v[92:93]
	v_fmac_f64_e32 v[100:101], s[8:9], v[96:97]
	;; [unrolled: 1-line block ×3, first 2 shown]
	v_add_f64 v[96:97], v[90:91], v[102:103]
	v_fmac_f64_e32 v[144:145], s[12:13], v[24:25]
	v_fmac_f64_e32 v[84:85], s[2:3], v[24:25]
	v_add_f64 v[24:25], v[86:87], v[90:91]
	v_fmac_f64_e32 v[86:87], -0.5, v[96:97]
	v_add_f64 v[24:25], v[24:25], v[94:95]
	v_fma_f64 v[96:97], s[10:11], v[92:93], v[86:87]
	v_add_f64 v[90:91], v[94:95], -v[90:91]
	v_add_f64 v[94:95], v[98:99], -v[102:103]
	v_fmac_f64_e32 v[86:87], s[4:5], v[92:93]
	v_add_f64 v[24:25], v[24:25], v[98:99]
	v_fmac_f64_e32 v[96:97], s[2:3], v[88:89]
	v_add_f64 v[90:91], v[90:91], v[94:95]
	v_fmac_f64_e32 v[86:87], s[12:13], v[88:89]
	v_mul_f64 v[88:89], v[100:101], s[12:13]
	v_mul_f64 v[98:99], v[132:133], s[12:13]
	v_fmac_f64_e32 v[96:97], s[8:9], v[90:91]
	v_fmac_f64_e32 v[88:89], s[20:21], v[128:129]
	;; [unrolled: 1-line block ×6, first 2 shown]
	v_add_f64 v[138:139], v[120:121], v[88:89]
	v_mul_f64 v[90:91], v[96:97], s[10:11]
	v_add_f64 v[130:131], v[16:17], v[98:99]
	v_mul_f64 v[252:253], v[96:97], s[8:9]
	v_add_f64 v[96:97], v[120:121], -v[88:89]
	v_add_f64 v[88:89], v[16:17], -v[98:99]
	v_add_f64 v[16:17], v[4:5], v[68:69]
	v_mul_f64 v[254:255], v[132:133], s[14:15]
	v_add_f64 v[16:17], v[16:17], v[72:73]
	v_add_f64 v[24:25], v[24:25], v[102:103]
	v_fmac_f64_e32 v[90:91], s[8:9], v[144:145]
	v_mul_f64 v[102:103], v[128:129], s[2:3]
	v_fmac_f64_e32 v[254:255], s[2:3], v[116:117]
	s_waitcnt lgkmcnt(13)
	v_add_f64 v[16:17], v[16:17], v[76:77]
	v_add_f64 v[142:143], v[118:119], v[90:91]
	v_mul_f64 v[94:95], v[86:87], s[10:11]
	v_fmac_f64_e32 v[102:103], s[20:21], v[100:101]
	v_fmac_f64_e32 v[252:253], s[4:5], v[144:145]
	v_mul_f64 v[86:87], v[86:87], s[18:19]
	v_add_f64 v[132:133], v[46:47], v[254:255]
	v_add_f64 v[100:101], v[118:119], -v[90:91]
	v_add_f64 v[90:91], v[46:47], -v[254:255]
	s_waitcnt lgkmcnt(11)
	v_add_f64 v[46:47], v[16:17], v[18:19]
	v_add_f64 v[16:17], v[72:73], v[76:77]
	v_fmac_f64_e32 v[94:95], s[18:19], v[84:85]
	v_add_f64 v[140:141], v[122:123], v[102:103]
	v_add_f64 v[144:145], v[22:23], v[252:253]
	v_fmac_f64_e32 v[86:87], s[4:5], v[84:85]
	v_add_f64 v[98:99], v[122:123], -v[102:103]
	v_add_f64 v[102:103], v[22:23], -v[252:253]
	v_fma_f64 v[16:17], -0.5, v[16:17], v[4:5]
	v_add_f64 v[22:23], v[70:71], -v[20:21]
	v_add_f64 v[134:135], v[114:115], v[112:113]
	v_add_f64 v[126:127], v[64:65], v[94:95]
	v_add_f64 v[136:137], v[124:125], v[24:25]
	v_add_f64 v[128:129], v[66:67], v[86:87]
	v_add_f64 v[92:93], v[114:115], -v[112:113]
	v_add_f64 v[84:85], v[64:65], -v[94:95]
	;; [unrolled: 1-line block ×4, first 2 shown]
	v_fma_f64 v[112:113], s[10:11], v[22:23], v[16:17]
	v_add_f64 v[24:25], v[74:75], -v[78:79]
	v_add_f64 v[64:65], v[68:69], -v[72:73]
	;; [unrolled: 1-line block ×3, first 2 shown]
	v_fmac_f64_e32 v[16:17], s[4:5], v[22:23]
	v_fmac_f64_e32 v[112:113], s[12:13], v[24:25]
	v_add_f64 v[64:65], v[64:65], v[66:67]
	v_fmac_f64_e32 v[16:17], s[2:3], v[24:25]
	v_fmac_f64_e32 v[112:113], s[8:9], v[64:65]
	;; [unrolled: 1-line block ×3, first 2 shown]
	v_add_f64 v[64:65], v[68:69], v[18:19]
	v_fmac_f64_e32 v[4:5], -0.5, v[64:65]
	v_fma_f64 v[116:117], s[4:5], v[24:25], v[4:5]
	v_fmac_f64_e32 v[4:5], s[10:11], v[24:25]
	v_fmac_f64_e32 v[116:117], s[12:13], v[22:23]
	;; [unrolled: 1-line block ×3, first 2 shown]
	v_add_f64 v[22:23], v[6:7], v[70:71]
	v_add_f64 v[22:23], v[22:23], v[74:75]
	v_add_f64 v[64:65], v[72:73], -v[68:69]
	v_add_f64 v[66:67], v[76:77], -v[18:19]
	v_add_f64 v[22:23], v[22:23], v[78:79]
	v_add_f64 v[64:65], v[64:65], v[66:67]
	;; [unrolled: 1-line block ×4, first 2 shown]
	v_fmac_f64_e32 v[116:117], s[8:9], v[64:65]
	v_fmac_f64_e32 v[4:5], s[8:9], v[64:65]
	v_fma_f64 v[22:23], -0.5, v[22:23], v[6:7]
	v_add_f64 v[64:65], v[68:69], -v[18:19]
	v_fma_f64 v[18:19], s[4:5], v[64:65], v[22:23]
	v_add_f64 v[66:67], v[72:73], -v[76:77]
	v_add_f64 v[68:69], v[70:71], -v[74:75]
	;; [unrolled: 1-line block ×3, first 2 shown]
	v_fmac_f64_e32 v[22:23], s[10:11], v[64:65]
	v_fmac_f64_e32 v[18:19], s[2:3], v[66:67]
	v_add_f64 v[68:69], v[68:69], v[72:73]
	v_fmac_f64_e32 v[22:23], s[12:13], v[66:67]
	v_fmac_f64_e32 v[18:19], s[8:9], v[68:69]
	;; [unrolled: 1-line block ×3, first 2 shown]
	v_add_f64 v[68:69], v[70:71], v[20:21]
	v_fmac_f64_e32 v[6:7], -0.5, v[68:69]
	v_fma_f64 v[114:115], s[10:11], v[66:67], v[6:7]
	v_fmac_f64_e32 v[6:7], s[4:5], v[66:67]
	v_fmac_f64_e32 v[114:115], s[2:3], v[64:65]
	;; [unrolled: 1-line block ×3, first 2 shown]
	v_add_f64 v[64:65], v[52:53], v[56:57]
	v_add_f64 v[68:69], v[74:75], -v[70:71]
	v_add_f64 v[20:21], v[78:79], -v[20:21]
	v_fma_f64 v[66:67], -0.5, v[64:65], v[0:1]
	s_waitcnt lgkmcnt(10)
	v_add_f64 v[64:65], v[50:51], -v[62:63]
	v_add_f64 v[20:21], v[68:69], v[20:21]
	v_fma_f64 v[74:75], s[10:11], v[64:65], v[66:67]
	v_add_f64 v[68:69], v[54:55], -v[58:59]
	v_add_f64 v[70:71], v[48:49], -v[52:53]
	;; [unrolled: 1-line block ×3, first 2 shown]
	v_fmac_f64_e32 v[66:67], s[4:5], v[64:65]
	v_fmac_f64_e32 v[74:75], s[12:13], v[68:69]
	v_add_f64 v[70:71], v[70:71], v[72:73]
	v_fmac_f64_e32 v[66:67], s[2:3], v[68:69]
	v_fmac_f64_e32 v[74:75], s[8:9], v[70:71]
	;; [unrolled: 1-line block ×3, first 2 shown]
	v_add_f64 v[70:71], v[48:49], v[60:61]
	v_fmac_f64_e32 v[114:115], s[8:9], v[20:21]
	v_fmac_f64_e32 v[6:7], s[8:9], v[20:21]
	v_add_f64 v[20:21], v[0:1], v[48:49]
	v_fmac_f64_e32 v[0:1], -0.5, v[70:71]
	v_fma_f64 v[78:79], s[4:5], v[68:69], v[0:1]
	v_fmac_f64_e32 v[0:1], s[10:11], v[68:69]
	v_fmac_f64_e32 v[78:79], s[12:13], v[64:65]
	;; [unrolled: 1-line block ×3, first 2 shown]
	v_add_f64 v[64:65], v[2:3], v[50:51]
	v_add_f64 v[64:65], v[64:65], v[54:55]
	;; [unrolled: 1-line block ×7, first 2 shown]
	v_add_f64 v[70:71], v[52:53], -v[48:49]
	v_fma_f64 v[120:121], -0.5, v[64:65], v[2:3]
	v_add_f64 v[48:49], v[48:49], -v[60:61]
	v_add_f64 v[20:21], v[20:21], v[60:61]
	v_add_f64 v[72:73], v[56:57], -v[60:61]
	v_fma_f64 v[122:123], s[4:5], v[48:49], v[120:121]
	v_add_f64 v[52:53], v[52:53], -v[56:57]
	v_add_f64 v[56:57], v[50:51], -v[54:55]
	;; [unrolled: 1-line block ×3, first 2 shown]
	v_fmac_f64_e32 v[120:121], s[10:11], v[48:49]
	v_fmac_f64_e32 v[122:123], s[2:3], v[52:53]
	v_add_f64 v[56:57], v[56:57], v[60:61]
	v_fmac_f64_e32 v[120:121], s[12:13], v[52:53]
	v_fmac_f64_e32 v[122:123], s[8:9], v[56:57]
	;; [unrolled: 1-line block ×3, first 2 shown]
	v_add_f64 v[56:57], v[50:51], v[62:63]
	v_fmac_f64_e32 v[2:3], -0.5, v[56:57]
	v_fma_f64 v[56:57], s[10:11], v[52:53], v[2:3]
	v_add_f64 v[50:51], v[54:55], -v[50:51]
	v_add_f64 v[54:55], v[58:59], -v[62:63]
	v_fmac_f64_e32 v[2:3], s[4:5], v[52:53]
	v_add_f64 v[50:51], v[50:51], v[54:55]
	v_fmac_f64_e32 v[2:3], s[12:13], v[48:49]
	v_add_f64 v[70:71], v[70:71], v[72:73]
	v_fmac_f64_e32 v[2:3], s[8:9], v[50:51]
	v_fmac_f64_e32 v[0:1], s[8:9], v[70:71]
	v_mul_f64 v[58:59], v[2:3], s[10:11]
	v_mul_f64 v[124:125], v[120:121], s[12:13]
	v_fmac_f64_e32 v[56:57], s[2:3], v[48:49]
	v_fmac_f64_e32 v[58:59], s[18:19], v[0:1]
	;; [unrolled: 1-line block ×3, first 2 shown]
	v_mul_f64 v[2:3], v[2:3], s[18:19]
	v_fmac_f64_e32 v[56:57], s[8:9], v[50:51]
	v_add_f64 v[60:61], v[4:5], v[58:59]
	v_add_f64 v[64:65], v[16:17], v[124:125]
	v_fmac_f64_e32 v[2:3], s[4:5], v[0:1]
	v_add_f64 v[0:1], v[4:5], -v[58:59]
	v_add_f64 v[4:5], v[16:17], -v[124:125]
	s_waitcnt lgkmcnt(7)
	v_add_f64 v[16:17], v[12:13], v[34:35]
	v_fmac_f64_e32 v[78:79], s[8:9], v[70:71]
	v_mul_f64 v[54:55], v[56:57], s[10:11]
	s_waitcnt lgkmcnt(5)
	v_add_f64 v[16:17], v[16:17], v[30:31]
	v_fmac_f64_e32 v[54:55], s[8:9], v[78:79]
	v_mul_f64 v[250:251], v[74:75], s[2:3]
	s_waitcnt lgkmcnt(3)
	v_add_f64 v[16:17], v[16:17], v[26:27]
	v_mul_f64 v[50:51], v[122:123], s[12:13]
	v_add_f64 v[76:77], v[116:117], v[54:55]
	v_fmac_f64_e32 v[250:251], s[20:21], v[122:123]
	v_mul_f64 v[122:123], v[56:57], s[8:9]
	v_mul_f64 v[120:121], v[120:121], s[14:15]
	v_add_f64 v[56:57], v[116:117], -v[54:55]
	s_waitcnt lgkmcnt(1)
	v_add_f64 v[116:117], v[16:17], v[108:109]
	v_add_f64 v[16:17], v[30:31], v[26:27]
	;; [unrolled: 1-line block ×3, first 2 shown]
	v_fmac_f64_e32 v[50:51], s[20:21], v[74:75]
	v_fmac_f64_e32 v[120:121], s[2:3], v[66:67]
	v_add_f64 v[48:49], v[46:47], -v[20:21]
	v_fma_f64 v[46:47], -0.5, v[16:17], v[12:13]
	v_add_f64 v[16:17], v[36:37], -v[110:111]
	v_add_f64 v[72:73], v[112:113], v[50:51]
	v_add_f64 v[70:71], v[24:25], v[118:119]
	;; [unrolled: 1-line block ×5, first 2 shown]
	v_add_f64 v[52:53], v[112:113], -v[50:51]
	v_add_f64 v[50:51], v[24:25], -v[118:119]
	v_add_f64 v[54:55], v[18:19], -v[250:251]
	v_add_f64 v[2:3], v[6:7], -v[2:3]
	v_add_f64 v[6:7], v[22:23], -v[120:121]
	v_fma_f64 v[118:119], s[10:11], v[16:17], v[46:47]
	v_add_f64 v[18:19], v[32:33], -v[28:29]
	v_add_f64 v[20:21], v[34:35], -v[30:31]
	;; [unrolled: 1-line block ×3, first 2 shown]
	v_fmac_f64_e32 v[46:47], s[4:5], v[16:17]
	v_fmac_f64_e32 v[118:119], s[12:13], v[18:19]
	v_add_f64 v[20:21], v[20:21], v[22:23]
	v_fmac_f64_e32 v[46:47], s[2:3], v[18:19]
	v_fmac_f64_e32 v[118:119], s[8:9], v[20:21]
	v_fmac_f64_e32 v[46:47], s[8:9], v[20:21]
	v_add_f64 v[20:21], v[34:35], v[108:109]
	v_fmac_f64_e32 v[122:123], s[4:5], v[78:79]
	v_fmac_f64_e32 v[12:13], -0.5, v[20:21]
	v_add_f64 v[78:79], v[114:115], v[122:123]
	v_add_f64 v[58:59], v[114:115], -v[122:123]
	v_fma_f64 v[122:123], s[4:5], v[18:19], v[12:13]
	v_fmac_f64_e32 v[12:13], s[10:11], v[18:19]
	v_fmac_f64_e32 v[122:123], s[12:13], v[16:17]
	v_fmac_f64_e32 v[12:13], s[2:3], v[16:17]
	v_add_f64 v[16:17], v[14:15], v[36:37]
	v_add_f64 v[16:17], v[16:17], v[32:33]
	;; [unrolled: 1-line block ×3, first 2 shown]
	v_add_f64 v[20:21], v[30:31], -v[34:35]
	v_add_f64 v[22:23], v[26:27], -v[108:109]
	v_add_f64 v[114:115], v[16:17], v[110:111]
	v_add_f64 v[16:17], v[32:33], v[28:29]
	v_add_f64 v[20:21], v[20:21], v[22:23]
	v_fma_f64 v[112:113], -0.5, v[16:17], v[14:15]
	v_add_f64 v[16:17], v[34:35], -v[108:109]
	v_fmac_f64_e32 v[122:123], s[8:9], v[20:21]
	v_fmac_f64_e32 v[12:13], s[8:9], v[20:21]
	v_fma_f64 v[108:109], s[4:5], v[16:17], v[112:113]
	v_add_f64 v[18:19], v[30:31], -v[26:27]
	v_add_f64 v[20:21], v[36:37], -v[32:33]
	;; [unrolled: 1-line block ×3, first 2 shown]
	v_fmac_f64_e32 v[112:113], s[10:11], v[16:17]
	v_fmac_f64_e32 v[108:109], s[2:3], v[18:19]
	v_add_f64 v[20:21], v[20:21], v[22:23]
	v_fmac_f64_e32 v[112:113], s[12:13], v[18:19]
	v_fmac_f64_e32 v[108:109], s[8:9], v[20:21]
	;; [unrolled: 1-line block ×3, first 2 shown]
	v_add_f64 v[20:21], v[36:37], v[110:111]
	v_fmac_f64_e32 v[14:15], -0.5, v[20:21]
	v_fma_f64 v[120:121], s[10:11], v[18:19], v[14:15]
	v_fmac_f64_e32 v[14:15], s[4:5], v[18:19]
	v_fmac_f64_e32 v[120:121], s[2:3], v[16:17]
	;; [unrolled: 1-line block ×3, first 2 shown]
	v_add_f64 v[16:17], v[8:9], v[104:105]
	v_add_f64 v[16:17], v[16:17], v[80:81]
	;; [unrolled: 1-line block ×3, first 2 shown]
	v_add_f64 v[20:21], v[32:33], -v[36:37]
	v_add_f64 v[22:23], v[28:29], -v[110:111]
	s_waitcnt lgkmcnt(0)
	v_add_f64 v[36:37], v[16:17], v[38:39]
	v_add_f64 v[16:17], v[80:81], v[42:43]
	;; [unrolled: 1-line block ×3, first 2 shown]
	v_fma_f64 v[30:31], -0.5, v[16:17], v[8:9]
	v_add_f64 v[16:17], v[106:107], -v[40:41]
	v_fmac_f64_e32 v[120:121], s[8:9], v[20:21]
	v_fmac_f64_e32 v[14:15], s[8:9], v[20:21]
	v_fma_f64 v[18:19], s[10:11], v[16:17], v[30:31]
	v_add_f64 v[20:21], v[82:83], -v[44:45]
	v_add_f64 v[22:23], v[104:105], -v[80:81]
	;; [unrolled: 1-line block ×3, first 2 shown]
	v_fmac_f64_e32 v[30:31], s[4:5], v[16:17]
	v_fmac_f64_e32 v[18:19], s[12:13], v[20:21]
	v_add_f64 v[22:23], v[22:23], v[24:25]
	v_fmac_f64_e32 v[30:31], s[2:3], v[20:21]
	v_fmac_f64_e32 v[18:19], s[8:9], v[22:23]
	;; [unrolled: 1-line block ×3, first 2 shown]
	v_add_f64 v[22:23], v[104:105], v[38:39]
	v_fmac_f64_e32 v[8:9], -0.5, v[22:23]
	v_fma_f64 v[34:35], s[4:5], v[20:21], v[8:9]
	v_fmac_f64_e32 v[8:9], s[10:11], v[20:21]
	v_fmac_f64_e32 v[34:35], s[12:13], v[16:17]
	;; [unrolled: 1-line block ×3, first 2 shown]
	v_add_f64 v[16:17], v[10:11], v[106:107]
	v_add_f64 v[16:17], v[16:17], v[82:83]
	;; [unrolled: 1-line block ×3, first 2 shown]
	v_add_f64 v[22:23], v[80:81], -v[104:105]
	v_add_f64 v[24:25], v[42:43], -v[38:39]
	v_add_f64 v[110:111], v[16:17], v[40:41]
	v_add_f64 v[16:17], v[82:83], v[44:45]
	;; [unrolled: 1-line block ×3, first 2 shown]
	v_fma_f64 v[124:125], -0.5, v[16:17], v[10:11]
	v_add_f64 v[16:17], v[104:105], -v[38:39]
	v_fmac_f64_e32 v[34:35], s[8:9], v[22:23]
	v_fmac_f64_e32 v[8:9], s[8:9], v[22:23]
	v_fma_f64 v[22:23], s[4:5], v[16:17], v[124:125]
	v_add_f64 v[20:21], v[80:81], -v[42:43]
	v_add_f64 v[24:25], v[106:107], -v[82:83]
	v_add_f64 v[26:27], v[40:41], -v[44:45]
	v_fmac_f64_e32 v[124:125], s[10:11], v[16:17]
	v_fmac_f64_e32 v[22:23], s[2:3], v[20:21]
	v_add_f64 v[24:25], v[24:25], v[26:27]
	v_fmac_f64_e32 v[124:125], s[12:13], v[20:21]
	v_fmac_f64_e32 v[22:23], s[8:9], v[24:25]
	;; [unrolled: 1-line block ×3, first 2 shown]
	v_add_f64 v[24:25], v[106:107], v[40:41]
	v_fmac_f64_e32 v[10:11], -0.5, v[24:25]
	v_fma_f64 v[38:39], s[10:11], v[20:21], v[10:11]
	v_add_f64 v[24:25], v[82:83], -v[106:107]
	v_add_f64 v[26:27], v[44:45], -v[40:41]
	v_fmac_f64_e32 v[10:11], s[4:5], v[20:21]
	v_fmac_f64_e32 v[38:39], s[2:3], v[16:17]
	v_add_f64 v[24:25], v[24:25], v[26:27]
	v_fmac_f64_e32 v[10:11], s[12:13], v[16:17]
	v_fmac_f64_e32 v[38:39], s[8:9], v[24:25]
	;; [unrolled: 1-line block ×3, first 2 shown]
	v_mul_f64 v[42:43], v[22:23], s[12:13]
	v_mul_f64 v[44:45], v[38:39], s[10:11]
	;; [unrolled: 1-line block ×8, first 2 shown]
	v_fmac_f64_e32 v[42:43], s[20:21], v[18:19]
	v_fmac_f64_e32 v[44:45], s[8:9], v[34:35]
	;; [unrolled: 1-line block ×8, first 2 shown]
	v_add_f64 v[24:25], v[116:117], v[36:37]
	v_add_f64 v[20:21], v[118:119], v[42:43]
	;; [unrolled: 1-line block ×10, first 2 shown]
	v_add_f64 v[40:41], v[116:117], -v[36:37]
	v_add_f64 v[36:37], v[118:119], -v[42:43]
	v_add_f64 v[8:9], v[122:123], -v[44:45]
	v_add_f64 v[44:45], v[12:13], -v[80:81]
	v_add_f64 v[12:13], v[46:47], -v[82:83]
	v_add_f64 v[42:43], v[114:115], -v[110:111]
	v_add_f64 v[38:39], v[108:109], -v[104:105]
	v_add_f64 v[10:11], v[120:121], -v[106:107]
	v_add_f64 v[46:47], v[14:15], -v[250:251]
	v_add_f64 v[14:15], v[112:113], -v[124:125]
	s_barrier
	ds_write_b128 v248, v[134:137]
	ds_write_b128 v248, v[138:141] offset:16
	ds_write_b128 v248, v[142:145] offset:32
	ds_write_b128 v248, v[126:129] offset:48
	ds_write_b128 v248, v[130:133] offset:64
	ds_write_b128 v248, v[92:95] offset:80
	ds_write_b128 v248, v[96:99] offset:96
	ds_write_b128 v248, v[100:103] offset:112
	ds_write_b128 v248, v[84:87] offset:128
	ds_write_b128 v248, v[88:91] offset:144
	ds_write_b128 v242, v[68:71]
	ds_write_b128 v242, v[72:75] offset:16
	ds_write_b128 v242, v[76:79] offset:32
	ds_write_b128 v242, v[60:63] offset:48
	ds_write_b128 v242, v[64:67] offset:64
	ds_write_b128 v242, v[48:51] offset:80
	ds_write_b128 v242, v[52:55] offset:96
	ds_write_b128 v242, v[56:59] offset:112
	ds_write_b128 v242, v[0:3] offset:128
	ds_write_b128 v242, v[4:7] offset:144
	;; [unrolled: 10-line block ×3, first 2 shown]
	s_waitcnt lgkmcnt(0)
	s_barrier
	ds_read_b128 v[24:27], v240
	ds_read_b128 v[116:119], v240 offset:7680
	ds_read_b128 v[112:115], v240 offset:15360
	;; [unrolled: 1-line block ×29, first 2 shown]
	s_waitcnt lgkmcnt(14)
	v_mul_f64 v[248:249], v[246:247], v[106:107]
	v_fmac_f64_e32 v[248:249], v[244:245], v[104:105]
	v_mul_f64 v[104:105], v[246:247], v[104:105]
	v_fma_f64 v[246:247], v[244:245], v[106:107], -v[104:105]
	scratch_load_dwordx4 v[104:107], off, off offset:584 ; 16-byte Folded Reload
	scratch_load_dwordx4 v[120:123], off, off offset:568 ; 16-byte Folded Reload
	s_mov_b32 s2, 0x16c16c17
	s_mov_b32 s3, 0x3f36c16c
	s_waitcnt vmcnt(1)
	v_mul_f64 v[244:245], v[106:107], v[102:103]
	v_fmac_f64_e32 v[244:245], v[104:105], v[100:101]
	v_mul_f64 v[100:101], v[106:107], v[100:101]
	v_fma_f64 v[242:243], v[104:105], v[102:103], -v[100:101]
	v_accvgpr_read_b32 v100, a222
	s_waitcnt vmcnt(0)
	v_mul_f64 v[134:135], v[122:123], v[118:119]
	v_accvgpr_read_b32 v102, a224
	v_accvgpr_read_b32 v103, a225
	v_fmac_f64_e32 v[134:135], v[120:121], v[116:117]
	v_mul_f64 v[116:117], v[122:123], v[116:117]
	v_accvgpr_read_b32 v101, a223
	v_mul_f64 v[122:123], v[102:103], v[98:99]
	v_fmac_f64_e32 v[122:123], v[100:101], v[96:97]
	v_mul_f64 v[96:97], v[102:103], v[96:97]
	v_fma_f64 v[126:127], v[100:101], v[98:99], -v[96:97]
	v_accvgpr_read_b32 v96, a170
	v_accvgpr_read_b32 v98, a172
	v_accvgpr_read_b32 v99, a173
	v_accvgpr_read_b32 v97, a171
	v_mul_f64 v[130:131], v[98:99], v[94:95]
	v_fmac_f64_e32 v[130:131], v[96:97], v[92:93]
	v_mul_f64 v[92:93], v[98:99], v[92:93]
	v_fma_f64 v[136:137], v[96:97], v[94:95], -v[92:93]
	v_accvgpr_read_b32 v92, a214
	v_accvgpr_read_b32 v94, a216
	v_accvgpr_read_b32 v95, a217
	;; [unrolled: 8-line block ×8, first 2 shown]
	v_accvgpr_read_b32 v81, a187
	s_waitcnt lgkmcnt(13)
	v_mul_f64 v[70:71], v[82:83], v[66:67]
	v_fmac_f64_e32 v[70:71], v[80:81], v[64:65]
	v_mul_f64 v[64:65], v[82:83], v[64:65]
	v_fma_f64 v[66:67], v[80:81], v[66:67], -v[64:65]
	v_accvgpr_read_b32 v80, a182
	v_accvgpr_read_b32 v82, a184
	v_accvgpr_read_b32 v83, a185
	v_accvgpr_read_b32 v81, a183
	s_waitcnt lgkmcnt(12)
	v_mul_f64 v[64:65], v[82:83], v[62:63]
	v_fmac_f64_e32 v[64:65], v[80:81], v[60:61]
	v_mul_f64 v[60:61], v[82:83], v[60:61]
	v_fma_f64 v[60:61], v[80:81], v[62:63], -v[60:61]
	v_accvgpr_read_b32 v80, a194
	v_accvgpr_read_b32 v82, a196
	v_accvgpr_read_b32 v83, a197
	;; [unrolled: 9-line block ×3, first 2 shown]
	v_accvgpr_read_b32 v57, a191
	s_waitcnt lgkmcnt(9)
	v_mul_f64 v[84:85], v[58:59], v[54:55]
	v_fmac_f64_e32 v[84:85], v[56:57], v[52:53]
	v_mul_f64 v[52:53], v[58:59], v[52:53]
	v_fma_f64 v[88:89], v[56:57], v[54:55], -v[52:53]
	scratch_load_dwordx4 v[52:55], off, off offset:696 ; 16-byte Folded Reload
	v_fma_f64 v[138:139], v[120:121], v[118:119], -v[116:117]
	scratch_load_dwordx4 v[116:119], off, off offset:548 ; 16-byte Folded Reload
	s_waitcnt vmcnt(1) lgkmcnt(8)
	v_mul_f64 v[80:81], v[54:55], v[46:47]
	v_fmac_f64_e32 v[80:81], v[52:53], v[44:45]
	v_mul_f64 v[44:45], v[54:55], v[44:45]
	v_fma_f64 v[82:83], v[52:53], v[46:47], -v[44:45]
	scratch_load_dwordx4 v[44:47], off, off offset:680 ; 16-byte Folded Reload
	s_waitcnt vmcnt(1)
	v_mul_f64 v[250:251], v[118:119], v[114:115]
	v_fmac_f64_e32 v[250:251], v[116:117], v[112:113]
	v_mul_f64 v[112:113], v[118:119], v[112:113]
	v_fma_f64 v[252:253], v[116:117], v[114:115], -v[112:113]
	scratch_load_dwordx4 v[112:115], off, off offset:532 ; 16-byte Folded Reload
	s_waitcnt vmcnt(1) lgkmcnt(7)
	v_mul_f64 v[98:99], v[46:47], v[38:39]
	v_fmac_f64_e32 v[98:99], v[44:45], v[36:37]
	v_mul_f64 v[36:37], v[46:47], v[36:37]
	v_fma_f64 v[120:121], v[44:45], v[38:39], -v[36:37]
	scratch_load_dwordx4 v[36:39], off, off offset:600 ; 16-byte Folded Reload
	s_waitcnt vmcnt(1)
	v_mul_f64 v[254:255], v[114:115], v[110:111]
	v_fmac_f64_e32 v[254:255], v[112:113], v[108:109]
	v_mul_f64 v[108:109], v[114:115], v[108:109]
	v_fma_f64 v[108:109], v[112:113], v[110:111], -v[108:109]
	s_waitcnt vmcnt(0) lgkmcnt(6)
	v_mul_f64 v[86:87], v[38:39], v[22:23]
	v_fmac_f64_e32 v[86:87], v[36:37], v[20:21]
	v_mul_f64 v[20:21], v[38:39], v[20:21]
	v_fma_f64 v[94:95], v[36:37], v[22:23], -v[20:21]
	v_accvgpr_read_b32 v36, a178
	v_accvgpr_read_b32 v38, a180
	;; [unrolled: 1-line block ×4, first 2 shown]
	s_waitcnt lgkmcnt(4)
	v_mul_f64 v[110:111], v[38:39], v[50:51]
	v_mul_f64 v[20:21], v[38:39], v[48:49]
	v_fmac_f64_e32 v[110:111], v[36:37], v[48:49]
	v_fma_f64 v[112:113], v[36:37], v[50:51], -v[20:21]
	v_accvgpr_read_b32 v36, a174
	v_accvgpr_read_b32 v38, a176
	;; [unrolled: 1-line block ×4, first 2 shown]
	s_waitcnt lgkmcnt(3)
	v_mul_f64 v[106:107], v[38:39], v[42:43]
	v_mul_f64 v[20:21], v[38:39], v[40:41]
	v_fmac_f64_e32 v[106:107], v[36:37], v[40:41]
	v_fma_f64 v[114:115], v[36:37], v[42:43], -v[20:21]
	scratch_load_dwordx4 v[36:39], off, off offset:664 ; 16-byte Folded Reload
	s_waitcnt vmcnt(0) lgkmcnt(2)
	v_mul_f64 v[100:101], v[38:39], v[34:35]
	v_mul_f64 v[20:21], v[38:39], v[32:33]
	v_fmac_f64_e32 v[100:101], v[36:37], v[32:33]
	v_fma_f64 v[102:103], v[36:37], v[34:35], -v[20:21]
	scratch_load_dwordx4 v[32:35], off, off offset:644 ; 16-byte Folded Reload
	s_waitcnt vmcnt(0) lgkmcnt(1)
	v_mul_f64 v[20:21], v[34:35], v[28:29]
	v_fma_f64 v[118:119], v[32:33], v[30:31], -v[20:21]
	scratch_load_dwordx4 v[20:23], off, off offset:616 ; 16-byte Folded Reload
	v_mul_f64 v[116:117], v[34:35], v[30:31]
	v_fmac_f64_e32 v[116:117], v[32:33], v[28:29]
	s_waitcnt lgkmcnt(0)
	s_barrier
	s_waitcnt vmcnt(0)
	v_mul_f64 v[104:105], v[22:23], v[18:19]
	v_fmac_f64_e32 v[104:105], v[20:21], v[16:17]
	v_mul_f64 v[16:17], v[22:23], v[16:17]
	v_fma_f64 v[16:17], v[20:21], v[18:19], -v[16:17]
	v_add_f64 v[20:21], v[250:251], v[248:249]
	v_add_f64 v[18:19], v[24:25], v[250:251]
	v_fmac_f64_e32 v[24:25], -0.5, v[20:21]
	v_add_f64 v[20:21], v[252:253], -v[246:247]
	v_fma_f64 v[32:33], s[22:23], v[20:21], v[24:25]
	v_fmac_f64_e32 v[24:25], s[16:17], v[20:21]
	v_add_f64 v[20:21], v[26:27], v[252:253]
	v_add_f64 v[34:35], v[20:21], v[246:247]
	v_add_f64 v[20:21], v[252:253], v[246:247]
	v_fmac_f64_e32 v[26:27], -0.5, v[20:21]
	v_add_f64 v[20:21], v[250:251], -v[248:249]
	v_fma_f64 v[40:41], s[16:17], v[20:21], v[26:27]
	v_fmac_f64_e32 v[26:27], s[22:23], v[20:21]
	v_add_f64 v[20:21], v[134:135], v[254:255]
	;; [unrolled: 7-line block ×3, first 2 shown]
	v_add_f64 v[38:39], v[20:21], v[242:243]
	v_add_f64 v[20:21], v[108:109], v[242:243]
	v_fmac_f64_e32 v[138:139], -0.5, v[20:21]
	v_add_f64 v[20:21], v[254:255], -v[244:245]
	v_fma_f64 v[42:43], s[16:17], v[20:21], v[138:139]
	v_mul_f64 v[44:45], v[42:43], s[22:23]
	v_mul_f64 v[42:43], v[42:43], 0.5
	v_fmac_f64_e32 v[42:43], s[16:17], v[30:31]
	v_add_f64 v[18:19], v[18:19], v[248:249]
	v_add_f64 v[22:23], v[34:35], v[38:39]
	;; [unrolled: 1-line block ×3, first 2 shown]
	v_add_f64 v[38:39], v[34:35], -v[38:39]
	v_add_f64 v[34:35], v[40:41], -v[42:43]
	v_add_f64 v[40:41], v[130:131], v[142:143]
	v_fmac_f64_e32 v[138:139], s[22:23], v[20:21]
	v_add_f64 v[20:21], v[18:19], v[36:37]
	v_add_f64 v[36:37], v[18:19], -v[36:37]
	v_add_f64 v[18:19], v[12:13], v[130:131]
	v_fmac_f64_e32 v[12:13], -0.5, v[40:41]
	v_add_f64 v[40:41], v[136:137], -v[144:145]
	v_fma_f64 v[52:53], s[22:23], v[40:41], v[12:13]
	v_fmac_f64_e32 v[12:13], s[16:17], v[40:41]
	v_add_f64 v[40:41], v[14:15], v[136:137]
	v_add_f64 v[54:55], v[40:41], v[144:145]
	v_add_f64 v[40:41], v[136:137], v[144:145]
	v_fmac_f64_e32 v[14:15], -0.5, v[40:41]
	v_add_f64 v[40:41], v[130:131], -v[142:143]
	v_fma_f64 v[62:63], s[16:17], v[40:41], v[14:15]
	v_fmac_f64_e32 v[14:15], s[22:23], v[40:41]
	v_add_f64 v[40:41], v[122:123], v[124:125]
	v_add_f64 v[56:57], v[40:41], v[132:133]
	;; [unrolled: 7-line block ×3, first 2 shown]
	v_add_f64 v[40:41], v[128:129], v[140:141]
	v_fmac_f64_e32 v[126:127], -0.5, v[40:41]
	v_add_f64 v[40:41], v[124:125], -v[132:133]
	v_fma_f64 v[50:51], s[16:17], v[40:41], v[126:127]
	v_mul_f64 v[46:47], v[138:139], s[22:23]
	v_mul_f64 v[128:129], v[50:51], 0.5
	v_fmac_f64_e32 v[46:47], -0.5, v[134:135]
	v_mul_f64 v[108:109], v[50:51], s[22:23]
	v_fmac_f64_e32 v[128:129], s[16:17], v[42:43]
	v_fmac_f64_e32 v[44:45], 0.5, v[30:31]
	v_add_f64 v[28:29], v[24:25], v[46:47]
	v_add_f64 v[24:25], v[24:25], -v[46:47]
	v_add_f64 v[18:19], v[18:19], v[142:143]
	v_fmac_f64_e32 v[108:109], 0.5, v[42:43]
	v_add_f64 v[46:47], v[54:55], v[58:59]
	v_add_f64 v[42:43], v[62:63], v[128:129]
	v_add_f64 v[58:59], v[54:55], -v[58:59]
	v_add_f64 v[54:55], v[62:63], -v[128:129]
	v_add_f64 v[62:63], v[78:79], v[70:71]
	v_add_f64 v[250:251], v[32:33], v[44:45]
	v_add_f64 v[32:33], v[32:33], -v[44:45]
	v_fmac_f64_e32 v[126:127], s[22:23], v[40:41]
	v_add_f64 v[44:45], v[18:19], v[56:57]
	v_add_f64 v[56:57], v[18:19], -v[56:57]
	v_add_f64 v[18:19], v[8:9], v[78:79]
	v_fmac_f64_e32 v[8:9], -0.5, v[62:63]
	v_add_f64 v[62:63], v[74:75], -v[66:67]
	v_add_f64 v[40:41], v[52:53], v[108:109]
	v_mul_f64 v[124:125], v[126:127], s[22:23]
	v_mul_f64 v[126:127], v[126:127], -0.5
	v_add_f64 v[52:53], v[52:53], -v[108:109]
	v_fma_f64 v[108:109], s[22:23], v[62:63], v[8:9]
	v_fmac_f64_e32 v[8:9], s[16:17], v[62:63]
	v_add_f64 v[62:63], v[10:11], v[74:75]
	v_fmac_f64_e32 v[124:125], -0.5, v[122:123]
	v_fmac_f64_e32 v[126:127], s[16:17], v[122:123]
	v_add_f64 v[122:123], v[62:63], v[66:67]
	v_add_f64 v[62:63], v[74:75], v[66:67]
	v_fmac_f64_e32 v[10:11], -0.5, v[62:63]
	v_add_f64 v[62:63], v[78:79], -v[70:71]
	v_fma_f64 v[74:75], s[16:17], v[62:63], v[10:11]
	v_fmac_f64_e32 v[10:11], s[22:23], v[62:63]
	v_add_f64 v[62:63], v[96:97], v[72:73]
	v_add_f64 v[78:79], v[62:63], v[64:65]
	;; [unrolled: 1-line block ×3, first 2 shown]
	v_mul_f64 v[48:49], v[138:139], -0.5
	v_fmac_f64_e32 v[96:97], -0.5, v[62:63]
	v_add_f64 v[62:63], v[68:69], -v[60:61]
	v_fmac_f64_e32 v[48:49], s[16:17], v[134:135]
	v_add_f64 v[18:19], v[18:19], v[70:71]
	v_fma_f64 v[70:71], s[22:23], v[62:63], v[96:97]
	v_fmac_f64_e32 v[96:97], s[16:17], v[62:63]
	v_add_f64 v[62:63], v[76:77], v[68:69]
	v_add_f64 v[30:31], v[26:27], v[48:49]
	v_add_f64 v[26:27], v[26:27], -v[48:49]
	v_add_f64 v[48:49], v[12:13], v[124:125]
	v_add_f64 v[12:13], v[12:13], -v[124:125]
	v_add_f64 v[124:125], v[62:63], v[60:61]
	v_add_f64 v[60:61], v[68:69], v[60:61]
	v_fmac_f64_e32 v[76:77], -0.5, v[60:61]
	v_add_f64 v[60:61], v[72:73], -v[64:65]
	v_fma_f64 v[62:63], s[16:17], v[60:61], v[76:77]
	v_fmac_f64_e32 v[76:77], s[22:23], v[60:61]
	v_add_f64 v[50:51], v[14:15], v[126:127]
	v_add_f64 v[14:15], v[14:15], -v[126:127]
	v_mul_f64 v[126:127], v[76:77], s[22:23]
	v_mul_f64 v[130:131], v[76:77], -0.5
	v_mul_f64 v[72:73], v[62:63], s[22:23]
	v_fmac_f64_e32 v[126:127], -0.5, v[96:97]
	v_fmac_f64_e32 v[130:131], s[16:17], v[96:97]
	v_add_f64 v[96:97], v[84:85], v[98:99]
	v_add_f64 v[64:65], v[18:19], v[78:79]
	v_fmac_f64_e32 v[72:73], 0.5, v[70:71]
	v_add_f64 v[76:77], v[18:19], -v[78:79]
	v_add_f64 v[18:19], v[4:5], v[84:85]
	v_fmac_f64_e32 v[4:5], -0.5, v[96:97]
	v_add_f64 v[96:97], v[88:89], -v[120:121]
	v_add_f64 v[60:61], v[108:109], v[72:73]
	v_add_f64 v[72:73], v[108:109], -v[72:73]
	v_fma_f64 v[108:109], s[22:23], v[96:97], v[4:5]
	v_fmac_f64_e32 v[4:5], s[16:17], v[96:97]
	v_add_f64 v[96:97], v[6:7], v[88:89]
	v_add_f64 v[88:89], v[88:89], v[120:121]
	v_fmac_f64_e32 v[6:7], -0.5, v[88:89]
	v_add_f64 v[84:85], v[84:85], -v[98:99]
	v_add_f64 v[66:67], v[122:123], v[124:125]
	v_add_f64 v[78:79], v[122:123], -v[124:125]
	v_add_f64 v[122:123], v[96:97], v[120:121]
	v_fma_f64 v[120:121], s[16:17], v[84:85], v[6:7]
	v_fmac_f64_e32 v[6:7], s[22:23], v[84:85]
	v_add_f64 v[84:85], v[90:91], v[80:81]
	v_add_f64 v[96:97], v[84:85], v[86:87]
	;; [unrolled: 1-line block ×3, first 2 shown]
	v_fmac_f64_e32 v[90:91], -0.5, v[84:85]
	v_add_f64 v[84:85], v[82:83], -v[94:95]
	v_add_f64 v[18:19], v[18:19], v[98:99]
	v_fma_f64 v[98:99], s[22:23], v[84:85], v[90:91]
	v_fmac_f64_e32 v[90:91], s[16:17], v[84:85]
	v_add_f64 v[84:85], v[92:93], v[82:83]
	v_add_f64 v[82:83], v[82:83], v[94:95]
	v_fmac_f64_e32 v[92:93], -0.5, v[82:83]
	v_add_f64 v[80:81], v[80:81], -v[86:87]
	v_fma_f64 v[82:83], s[16:17], v[80:81], v[92:93]
	v_mul_f64 v[128:129], v[62:63], 0.5
	v_add_f64 v[124:125], v[84:85], v[94:95]
	v_mul_f64 v[94:95], v[82:83], s[22:23]
	v_fmac_f64_e32 v[128:129], s[16:17], v[70:71]
	v_fmac_f64_e32 v[92:93], s[22:23], v[80:81]
	v_fmac_f64_e32 v[94:95], 0.5, v[98:99]
	v_add_f64 v[68:69], v[8:9], v[126:127]
	v_add_f64 v[62:63], v[74:75], v[128:129]
	;; [unrolled: 1-line block ×3, first 2 shown]
	v_add_f64 v[8:9], v[8:9], -v[126:127]
	v_add_f64 v[74:75], v[74:75], -v[128:129]
	;; [unrolled: 1-line block ×3, first 2 shown]
	v_add_f64 v[80:81], v[108:109], v[94:95]
	v_mul_f64 v[126:127], v[92:93], s[22:23]
	v_mul_f64 v[128:129], v[82:83], 0.5
	v_mul_f64 v[130:131], v[92:93], -0.5
	v_add_f64 v[92:93], v[108:109], -v[94:95]
	v_add_f64 v[108:109], v[106:107], v[116:117]
	v_add_f64 v[84:85], v[18:19], v[96:97]
	v_fmac_f64_e32 v[128:129], s[16:17], v[98:99]
	v_add_f64 v[96:97], v[18:19], -v[96:97]
	v_add_f64 v[18:19], v[0:1], v[106:107]
	v_fmac_f64_e32 v[0:1], -0.5, v[108:109]
	v_add_f64 v[108:109], v[114:115], -v[118:119]
	v_add_f64 v[82:83], v[120:121], v[128:129]
	v_add_f64 v[94:95], v[120:121], -v[128:129]
	v_fma_f64 v[120:121], s[22:23], v[108:109], v[0:1]
	v_fmac_f64_e32 v[0:1], s[16:17], v[108:109]
	v_add_f64 v[108:109], v[2:3], v[114:115]
	v_add_f64 v[86:87], v[122:123], v[124:125]
	v_add_f64 v[98:99], v[122:123], -v[124:125]
	v_add_f64 v[122:123], v[108:109], v[118:119]
	v_add_f64 v[108:109], v[114:115], v[118:119]
	v_fmac_f64_e32 v[2:3], -0.5, v[108:109]
	v_add_f64 v[106:107], v[106:107], -v[116:117]
	v_fma_f64 v[114:115], s[16:17], v[106:107], v[2:3]
	v_fmac_f64_e32 v[2:3], s[22:23], v[106:107]
	v_add_f64 v[106:107], v[110:111], v[100:101]
	v_add_f64 v[18:19], v[18:19], v[116:117]
	;; [unrolled: 1-line block ×4, first 2 shown]
	v_fmac_f64_e32 v[110:111], -0.5, v[106:107]
	v_add_f64 v[106:107], v[102:103], -v[16:17]
	v_fma_f64 v[118:119], s[22:23], v[106:107], v[110:111]
	v_fmac_f64_e32 v[110:111], s[16:17], v[106:107]
	v_add_f64 v[106:107], v[112:113], v[102:103]
	v_add_f64 v[124:125], v[106:107], v[16:17]
	;; [unrolled: 1-line block ×3, first 2 shown]
	v_fmac_f64_e32 v[112:113], -0.5, v[16:17]
	v_add_f64 v[16:17], v[100:101], -v[104:105]
	v_fma_f64 v[102:103], s[16:17], v[16:17], v[112:113]
	v_fmac_f64_e32 v[112:113], s[22:23], v[16:17]
	v_mul_f64 v[16:17], v[102:103], s[22:23]
	v_fmac_f64_e32 v[126:127], -0.5, v[90:91]
	v_fmac_f64_e32 v[130:131], s[16:17], v[90:91]
	v_fmac_f64_e32 v[16:17], 0.5, v[118:119]
	v_add_f64 v[88:89], v[4:5], v[126:127]
	v_add_f64 v[90:91], v[6:7], v[130:131]
	v_add_f64 v[4:5], v[4:5], -v[126:127]
	v_add_f64 v[6:7], v[6:7], -v[130:131]
	v_add_f64 v[100:101], v[120:121], v[16:17]
	v_mul_f64 v[126:127], v[112:113], s[22:23]
	v_mul_f64 v[130:131], v[112:113], -0.5
	v_add_f64 v[112:113], v[120:121], -v[16:17]
	scratch_load_dword v16, off, off offset:528 ; 4-byte Folded Reload
	s_waitcnt vmcnt(0)
	ds_write_b128 v16, v[20:23]
	ds_write_b128 v16, v[250:253] offset:160
	ds_write_b128 v16, v[28:31] offset:320
	ds_write_b128 v16, v[36:39] offset:480
	ds_write_b128 v16, v[32:35] offset:640
	ds_write_b128 v16, v[24:27] offset:800
	scratch_load_dword v16, off, off offset:564 ; 4-byte Folded Reload
	s_waitcnt vmcnt(0)
	ds_write_b128 v16, v[44:47]
	ds_write_b128 v16, v[40:43] offset:160
	ds_write_b128 v16, v[48:51] offset:320
	ds_write_b128 v16, v[56:59] offset:480
	ds_write_b128 v16, v[52:55] offset:640
	ds_write_b128 v16, v[12:15] offset:800
	;; [unrolled: 8-line block ×4, first 2 shown]
	scratch_load_dword v4, off, off offset:396 ; 4-byte Folded Reload
	v_mul_f64 v[128:129], v[102:103], 0.5
	v_fmac_f64_e32 v[126:127], -0.5, v[110:111]
	v_add_f64 v[106:107], v[122:123], v[124:125]
	v_fmac_f64_e32 v[128:129], s[16:17], v[118:119]
	v_fmac_f64_e32 v[130:131], s[16:17], v[110:111]
	v_add_f64 v[118:119], v[122:123], -v[124:125]
	v_accvgpr_read_b32 v120, a228
	v_add_f64 v[104:105], v[18:19], v[116:117]
	v_add_f64 v[108:109], v[0:1], v[126:127]
	;; [unrolled: 1-line block ×4, first 2 shown]
	v_add_f64 v[116:117], v[18:19], -v[116:117]
	v_add_f64 v[0:1], v[0:1], -v[126:127]
	;; [unrolled: 1-line block ×4, first 2 shown]
	v_accvgpr_read_b32 v122, a230
	v_accvgpr_read_b32 v123, a231
	s_waitcnt vmcnt(0)
	ds_write_b128 v4, v[104:107]
	ds_write_b128 v4, v[100:103] offset:160
	ds_write_b128 v4, v[108:111] offset:320
	;; [unrolled: 1-line block ×5, first 2 shown]
	s_waitcnt lgkmcnt(0)
	s_barrier
	ds_read_b128 v[24:27], v240
	ds_read_b128 v[116:119], v240 offset:7680
	ds_read_b128 v[112:115], v240 offset:15360
	;; [unrolled: 1-line block ×29, first 2 shown]
	v_accvgpr_read_b32 v121, a229
	s_waitcnt lgkmcnt(14)
	v_mul_f64 v[134:135], v[122:123], v[118:119]
	v_fmac_f64_e32 v[134:135], v[120:121], v[116:117]
	v_mul_f64 v[116:117], v[122:123], v[116:117]
	v_fma_f64 v[138:139], v[120:121], v[118:119], -v[116:117]
	v_accvgpr_read_b32 v116, a142
	v_accvgpr_read_b32 v118, a144
	v_accvgpr_read_b32 v119, a145
	v_accvgpr_read_b32 v117, a143
	v_mul_f64 v[242:243], v[118:119], v[114:115]
	v_fmac_f64_e32 v[242:243], v[116:117], v[112:113]
	v_mul_f64 v[112:113], v[118:119], v[112:113]
	v_fma_f64 v[244:245], v[116:117], v[114:115], -v[112:113]
	v_accvgpr_read_b32 v115, a103
	v_accvgpr_read_b32 v114, a102
	v_accvgpr_read_b32 v113, a101
	v_accvgpr_read_b32 v112, a100
	;; [unrolled: 8-line block ×13, first 2 shown]
	s_waitcnt lgkmcnt(13)
	v_mul_f64 v[70:71], v[82:83], v[66:67]
	v_fmac_f64_e32 v[70:71], v[80:81], v[64:65]
	v_mul_f64 v[64:65], v[82:83], v[64:65]
	v_fma_f64 v[66:67], v[80:81], v[66:67], -v[64:65]
	v_accvgpr_read_b32 v80, a154
	v_accvgpr_read_b32 v82, a156
	v_accvgpr_read_b32 v83, a157
	v_accvgpr_read_b32 v81, a155
	s_waitcnt lgkmcnt(12)
	v_mul_f64 v[64:65], v[82:83], v[62:63]
	v_fmac_f64_e32 v[64:65], v[80:81], v[60:61]
	v_mul_f64 v[60:61], v[82:83], v[60:61]
	v_fma_f64 v[60:61], v[80:81], v[62:63], -v[60:61]
	v_accvgpr_read_b32 v80, a138
	v_accvgpr_read_b32 v82, a140
	v_accvgpr_read_b32 v83, a141
	v_accvgpr_read_b32 v81, a139
	;; [unrolled: 9-line block ×7, first 2 shown]
	s_waitcnt lgkmcnt(4)
	v_mul_f64 v[110:111], v[38:39], v[50:51]
	v_mul_f64 v[20:21], v[38:39], v[48:49]
	v_fmac_f64_e32 v[110:111], v[36:37], v[48:49]
	v_fma_f64 v[112:113], v[36:37], v[50:51], -v[20:21]
	v_accvgpr_read_b32 v36, a162
	v_accvgpr_read_b32 v38, a164
	v_accvgpr_read_b32 v39, a165
	v_accvgpr_read_b32 v37, a163
	s_waitcnt lgkmcnt(3)
	v_mul_f64 v[106:107], v[38:39], v[42:43]
	v_mul_f64 v[20:21], v[38:39], v[40:41]
	v_fmac_f64_e32 v[106:107], v[36:37], v[40:41]
	v_fma_f64 v[114:115], v[36:37], v[42:43], -v[20:21]
	v_accvgpr_read_b32 v36, a246
	v_accvgpr_read_b32 v38, a248
	v_accvgpr_read_b32 v39, a249
	v_accvgpr_read_b32 v37, a247
	;; [unrolled: 9-line block ×4, first 2 shown]
	s_waitcnt lgkmcnt(0)
	v_mul_f64 v[104:105], v[30:31], v[18:19]
	v_fmac_f64_e32 v[104:105], v[28:29], v[16:17]
	v_mul_f64 v[16:17], v[30:31], v[16:17]
	v_fma_f64 v[108:109], v[28:29], v[18:19], -v[16:17]
	v_add_f64 v[16:17], v[24:25], v[242:243]
	v_add_f64 v[22:23], v[16:17], v[250:251]
	v_add_f64 v[16:17], v[242:243], v[250:251]
	v_fmac_f64_e32 v[24:25], -0.5, v[16:17]
	v_add_f64 v[16:17], v[244:245], -v[252:253]
	v_fma_f64 v[32:33], s[22:23], v[16:17], v[24:25]
	v_fmac_f64_e32 v[24:25], s[16:17], v[16:17]
	v_add_f64 v[16:17], v[26:27], v[244:245]
	v_add_f64 v[34:35], v[16:17], v[252:253]
	v_add_f64 v[16:17], v[244:245], v[252:253]
	v_fmac_f64_e32 v[26:27], -0.5, v[16:17]
	v_add_f64 v[16:17], v[242:243], -v[250:251]
	v_fma_f64 v[40:41], s[16:17], v[16:17], v[26:27]
	v_fmac_f64_e32 v[26:27], s[22:23], v[16:17]
	v_add_f64 v[16:17], v[134:135], v[246:247]
	v_add_f64 v[36:37], v[16:17], v[254:255]
	v_add_f64 v[16:17], v[246:247], v[254:255]
	v_fmac_f64_e32 v[134:135], -0.5, v[16:17]
	v_add_f64 v[16:17], v[248:249], -v[102:103]
	v_fma_f64 v[18:19], s[22:23], v[16:17], v[134:135]
	v_fmac_f64_e32 v[134:135], s[16:17], v[16:17]
	v_add_f64 v[16:17], v[138:139], v[248:249]
	v_add_f64 v[38:39], v[16:17], v[102:103]
	;; [unrolled: 1-line block ×3, first 2 shown]
	v_fmac_f64_e32 v[138:139], -0.5, v[16:17]
	v_add_f64 v[16:17], v[246:247], -v[254:255]
	v_fma_f64 v[30:31], s[16:17], v[16:17], v[138:139]
	v_mul_f64 v[46:47], v[30:31], 0.5
	v_mul_f64 v[42:43], v[30:31], s[22:23]
	v_fmac_f64_e32 v[46:47], s[16:17], v[18:19]
	v_fmac_f64_e32 v[42:43], 0.5, v[18:19]
	v_add_f64 v[244:245], v[34:35], v[38:39]
	v_add_f64 v[18:19], v[40:41], v[46:47]
	v_add_f64 v[38:39], v[34:35], -v[38:39]
	v_add_f64 v[34:35], v[40:41], -v[46:47]
	v_add_f64 v[40:41], v[130:131], v[142:143]
	v_add_f64 v[242:243], v[22:23], v[36:37]
	v_add_f64 v[36:37], v[22:23], -v[36:37]
	v_add_f64 v[22:23], v[12:13], v[130:131]
	v_fmac_f64_e32 v[12:13], -0.5, v[40:41]
	v_add_f64 v[40:41], v[136:137], -v[144:145]
	v_fma_f64 v[52:53], s[22:23], v[40:41], v[12:13]
	v_fmac_f64_e32 v[12:13], s[16:17], v[40:41]
	v_add_f64 v[40:41], v[14:15], v[136:137]
	v_add_f64 v[54:55], v[40:41], v[144:145]
	;; [unrolled: 1-line block ×3, first 2 shown]
	v_fmac_f64_e32 v[14:15], -0.5, v[40:41]
	v_add_f64 v[40:41], v[130:131], -v[142:143]
	v_fma_f64 v[62:63], s[16:17], v[40:41], v[14:15]
	v_fmac_f64_e32 v[14:15], s[22:23], v[40:41]
	v_add_f64 v[40:41], v[122:123], v[124:125]
	v_add_f64 v[56:57], v[40:41], v[132:133]
	;; [unrolled: 1-line block ×3, first 2 shown]
	v_fmac_f64_e32 v[122:123], -0.5, v[40:41]
	v_add_f64 v[40:41], v[128:129], -v[140:141]
	v_fmac_f64_e32 v[138:139], s[22:23], v[16:17]
	v_add_f64 v[16:17], v[32:33], v[42:43]
	v_add_f64 v[32:33], v[32:33], -v[42:43]
	v_fma_f64 v[42:43], s[22:23], v[40:41], v[122:123]
	v_fmac_f64_e32 v[122:123], s[16:17], v[40:41]
	v_add_f64 v[40:41], v[126:127], v[128:129]
	v_add_f64 v[58:59], v[40:41], v[140:141]
	v_add_f64 v[40:41], v[128:129], v[140:141]
	v_fmac_f64_e32 v[126:127], -0.5, v[40:41]
	v_add_f64 v[40:41], v[124:125], -v[132:133]
	v_fma_f64 v[50:51], s[16:17], v[40:41], v[126:127]
	v_mul_f64 v[128:129], v[50:51], 0.5
	v_mul_f64 v[44:45], v[138:139], s[22:23]
	v_mul_f64 v[102:103], v[50:51], s[22:23]
	v_fmac_f64_e32 v[128:129], s[16:17], v[42:43]
	v_fmac_f64_e32 v[44:45], -0.5, v[134:135]
	v_add_f64 v[22:23], v[22:23], v[142:143]
	v_fmac_f64_e32 v[102:103], 0.5, v[42:43]
	v_add_f64 v[46:47], v[54:55], v[58:59]
	v_add_f64 v[42:43], v[62:63], v[128:129]
	v_add_f64 v[58:59], v[54:55], -v[58:59]
	v_add_f64 v[54:55], v[62:63], -v[128:129]
	v_add_f64 v[62:63], v[78:79], v[70:71]
	v_add_f64 v[28:29], v[24:25], v[44:45]
	v_add_f64 v[24:25], v[24:25], -v[44:45]
	v_fmac_f64_e32 v[126:127], s[22:23], v[40:41]
	v_add_f64 v[44:45], v[22:23], v[56:57]
	v_add_f64 v[56:57], v[22:23], -v[56:57]
	v_add_f64 v[22:23], v[8:9], v[78:79]
	v_fmac_f64_e32 v[8:9], -0.5, v[62:63]
	v_add_f64 v[62:63], v[74:75], -v[66:67]
	v_add_f64 v[40:41], v[52:53], v[102:103]
	v_mul_f64 v[124:125], v[126:127], s[22:23]
	v_mul_f64 v[126:127], v[126:127], -0.5
	v_add_f64 v[52:53], v[52:53], -v[102:103]
	v_fma_f64 v[102:103], s[22:23], v[62:63], v[8:9]
	v_fmac_f64_e32 v[8:9], s[16:17], v[62:63]
	v_add_f64 v[62:63], v[10:11], v[74:75]
	v_fmac_f64_e32 v[124:125], -0.5, v[122:123]
	v_fmac_f64_e32 v[126:127], s[16:17], v[122:123]
	v_add_f64 v[122:123], v[62:63], v[66:67]
	v_add_f64 v[62:63], v[74:75], v[66:67]
	v_fmac_f64_e32 v[10:11], -0.5, v[62:63]
	v_add_f64 v[62:63], v[78:79], -v[70:71]
	v_fma_f64 v[74:75], s[16:17], v[62:63], v[10:11]
	v_fmac_f64_e32 v[10:11], s[22:23], v[62:63]
	v_add_f64 v[62:63], v[96:97], v[72:73]
	v_add_f64 v[78:79], v[62:63], v[64:65]
	;; [unrolled: 1-line block ×3, first 2 shown]
	v_mul_f64 v[48:49], v[138:139], -0.5
	v_fmac_f64_e32 v[96:97], -0.5, v[62:63]
	v_add_f64 v[62:63], v[68:69], -v[60:61]
	v_fmac_f64_e32 v[48:49], s[16:17], v[134:135]
	v_add_f64 v[22:23], v[22:23], v[70:71]
	v_fma_f64 v[70:71], s[22:23], v[62:63], v[96:97]
	v_fmac_f64_e32 v[96:97], s[16:17], v[62:63]
	v_add_f64 v[62:63], v[76:77], v[68:69]
	v_add_f64 v[30:31], v[26:27], v[48:49]
	v_add_f64 v[26:27], v[26:27], -v[48:49]
	v_add_f64 v[48:49], v[12:13], v[124:125]
	v_add_f64 v[12:13], v[12:13], -v[124:125]
	v_add_f64 v[124:125], v[62:63], v[60:61]
	v_add_f64 v[60:61], v[68:69], v[60:61]
	v_fmac_f64_e32 v[76:77], -0.5, v[60:61]
	v_add_f64 v[60:61], v[72:73], -v[64:65]
	v_fma_f64 v[62:63], s[16:17], v[60:61], v[76:77]
	v_fmac_f64_e32 v[76:77], s[22:23], v[60:61]
	v_add_f64 v[50:51], v[14:15], v[126:127]
	v_add_f64 v[14:15], v[14:15], -v[126:127]
	v_mul_f64 v[126:127], v[76:77], s[22:23]
	v_mul_f64 v[130:131], v[76:77], -0.5
	v_mul_f64 v[72:73], v[62:63], s[22:23]
	v_fmac_f64_e32 v[126:127], -0.5, v[96:97]
	v_fmac_f64_e32 v[130:131], s[16:17], v[96:97]
	v_add_f64 v[96:97], v[84:85], v[98:99]
	v_add_f64 v[64:65], v[22:23], v[78:79]
	v_fmac_f64_e32 v[72:73], 0.5, v[70:71]
	v_add_f64 v[76:77], v[22:23], -v[78:79]
	v_add_f64 v[22:23], v[4:5], v[84:85]
	v_fmac_f64_e32 v[4:5], -0.5, v[96:97]
	v_add_f64 v[96:97], v[88:89], -v[120:121]
	v_add_f64 v[60:61], v[102:103], v[72:73]
	v_add_f64 v[72:73], v[102:103], -v[72:73]
	v_fma_f64 v[102:103], s[22:23], v[96:97], v[4:5]
	v_fmac_f64_e32 v[4:5], s[16:17], v[96:97]
	v_add_f64 v[96:97], v[6:7], v[88:89]
	v_add_f64 v[88:89], v[88:89], v[120:121]
	v_fmac_f64_e32 v[6:7], -0.5, v[88:89]
	v_add_f64 v[84:85], v[84:85], -v[98:99]
	v_add_f64 v[66:67], v[122:123], v[124:125]
	v_add_f64 v[78:79], v[122:123], -v[124:125]
	v_add_f64 v[122:123], v[96:97], v[120:121]
	v_fma_f64 v[120:121], s[16:17], v[84:85], v[6:7]
	v_fmac_f64_e32 v[6:7], s[22:23], v[84:85]
	v_add_f64 v[84:85], v[90:91], v[80:81]
	v_add_f64 v[96:97], v[84:85], v[86:87]
	;; [unrolled: 1-line block ×3, first 2 shown]
	v_fmac_f64_e32 v[90:91], -0.5, v[84:85]
	v_add_f64 v[84:85], v[82:83], -v[94:95]
	v_add_f64 v[22:23], v[22:23], v[98:99]
	v_fma_f64 v[98:99], s[22:23], v[84:85], v[90:91]
	v_fmac_f64_e32 v[90:91], s[16:17], v[84:85]
	v_add_f64 v[84:85], v[92:93], v[82:83]
	v_add_f64 v[82:83], v[82:83], v[94:95]
	v_fmac_f64_e32 v[92:93], -0.5, v[82:83]
	v_add_f64 v[80:81], v[80:81], -v[86:87]
	v_fma_f64 v[82:83], s[16:17], v[80:81], v[92:93]
	v_mul_f64 v[128:129], v[62:63], 0.5
	v_add_f64 v[124:125], v[84:85], v[94:95]
	v_mul_f64 v[94:95], v[82:83], s[22:23]
	v_fmac_f64_e32 v[128:129], s[16:17], v[70:71]
	v_fmac_f64_e32 v[92:93], s[22:23], v[80:81]
	v_fmac_f64_e32 v[94:95], 0.5, v[98:99]
	v_add_f64 v[68:69], v[8:9], v[126:127]
	v_add_f64 v[62:63], v[74:75], v[128:129]
	;; [unrolled: 1-line block ×3, first 2 shown]
	v_add_f64 v[8:9], v[8:9], -v[126:127]
	v_add_f64 v[74:75], v[74:75], -v[128:129]
	;; [unrolled: 1-line block ×3, first 2 shown]
	v_add_f64 v[80:81], v[102:103], v[94:95]
	v_mul_f64 v[126:127], v[92:93], s[22:23]
	v_mul_f64 v[128:129], v[82:83], 0.5
	v_mul_f64 v[130:131], v[92:93], -0.5
	v_add_f64 v[92:93], v[102:103], -v[94:95]
	v_add_f64 v[102:103], v[106:107], v[116:117]
	v_add_f64 v[84:85], v[22:23], v[96:97]
	v_fmac_f64_e32 v[128:129], s[16:17], v[98:99]
	v_add_f64 v[96:97], v[22:23], -v[96:97]
	v_add_f64 v[22:23], v[0:1], v[106:107]
	v_fmac_f64_e32 v[0:1], -0.5, v[102:103]
	v_add_f64 v[102:103], v[114:115], -v[118:119]
	v_add_f64 v[82:83], v[120:121], v[128:129]
	v_add_f64 v[94:95], v[120:121], -v[128:129]
	v_fma_f64 v[120:121], s[22:23], v[102:103], v[0:1]
	v_fmac_f64_e32 v[0:1], s[16:17], v[102:103]
	v_add_f64 v[102:103], v[2:3], v[114:115]
	v_add_f64 v[86:87], v[122:123], v[124:125]
	v_add_f64 v[98:99], v[122:123], -v[124:125]
	v_add_f64 v[122:123], v[102:103], v[118:119]
	v_add_f64 v[102:103], v[114:115], v[118:119]
	v_fmac_f64_e32 v[2:3], -0.5, v[102:103]
	v_add_f64 v[102:103], v[106:107], -v[116:117]
	v_fma_f64 v[114:115], s[16:17], v[102:103], v[2:3]
	v_fmac_f64_e32 v[2:3], s[22:23], v[102:103]
	v_add_f64 v[102:103], v[110:111], v[100:101]
	v_add_f64 v[22:23], v[22:23], v[116:117]
	;; [unrolled: 1-line block ×4, first 2 shown]
	v_fmac_f64_e32 v[110:111], -0.5, v[102:103]
	v_add_f64 v[102:103], v[20:21], -v[108:109]
	v_fma_f64 v[118:119], s[22:23], v[102:103], v[110:111]
	v_fmac_f64_e32 v[110:111], s[16:17], v[102:103]
	v_add_f64 v[102:103], v[112:113], v[20:21]
	v_add_f64 v[20:21], v[20:21], v[108:109]
	v_fmac_f64_e32 v[112:113], -0.5, v[20:21]
	v_add_f64 v[20:21], v[100:101], -v[104:105]
	v_add_f64 v[124:125], v[102:103], v[108:109]
	v_fma_f64 v[102:103], s[16:17], v[20:21], v[112:113]
	v_fmac_f64_e32 v[112:113], s[22:23], v[20:21]
	v_mul_f64 v[20:21], v[102:103], s[22:23]
	v_fmac_f64_e32 v[126:127], -0.5, v[90:91]
	v_fmac_f64_e32 v[130:131], s[16:17], v[90:91]
	v_fmac_f64_e32 v[20:21], 0.5, v[118:119]
	v_add_f64 v[88:89], v[4:5], v[126:127]
	v_add_f64 v[90:91], v[6:7], v[130:131]
	v_add_f64 v[4:5], v[4:5], -v[126:127]
	v_add_f64 v[6:7], v[6:7], -v[130:131]
	v_add_f64 v[100:101], v[120:121], v[20:21]
	v_mul_f64 v[126:127], v[112:113], s[22:23]
	v_mul_f64 v[130:131], v[112:113], -0.5
	v_add_f64 v[112:113], v[120:121], -v[20:21]
	v_accvgpr_read_b32 v20, a227
	s_barrier
	ds_write_b128 v20, v[242:245]
	ds_write_b128 v20, v[16:19] offset:960
	ds_write_b128 v20, v[28:31] offset:1920
	;; [unrolled: 1-line block ×5, first 2 shown]
	v_accvgpr_read_b32 v16, a255
	ds_write_b128 v16, v[44:47]
	ds_write_b128 v16, v[40:43] offset:960
	ds_write_b128 v16, v[48:51] offset:1920
	;; [unrolled: 1-line block ×5, first 2 shown]
	v_accvgpr_read_b32 v12, a233
	ds_write_b128 v12, v[64:67]
	ds_write_b128 v12, v[60:63] offset:960
	ds_write_b128 v12, v[68:71] offset:1920
	ds_write_b128 v12, v[76:79] offset:2880
	ds_write_b128 v12, v[72:75] offset:3840
	ds_write_b128 v12, v[8:11] offset:4800
	scratch_load_dword v8, off, off offset:660 ; 4-byte Folded Reload
	s_waitcnt vmcnt(0)
	ds_write_b128 v8, v[84:87]
	ds_write_b128 v8, v[80:83] offset:960
	ds_write_b128 v8, v[88:91] offset:1920
	;; [unrolled: 1-line block ×5, first 2 shown]
	scratch_load_dword v4, off, off offset:640 ; 4-byte Folded Reload
	v_mul_f64 v[128:129], v[102:103], 0.5
	v_fmac_f64_e32 v[126:127], -0.5, v[110:111]
	v_add_f64 v[106:107], v[122:123], v[124:125]
	v_fmac_f64_e32 v[128:129], s[16:17], v[118:119]
	v_fmac_f64_e32 v[130:131], s[16:17], v[110:111]
	v_add_f64 v[118:119], v[122:123], -v[124:125]
	v_accvgpr_read_b32 v125, a59
	v_add_f64 v[104:105], v[22:23], v[116:117]
	v_add_f64 v[108:109], v[0:1], v[126:127]
	;; [unrolled: 1-line block ×4, first 2 shown]
	v_add_f64 v[116:117], v[22:23], -v[116:117]
	v_add_f64 v[0:1], v[0:1], -v[126:127]
	v_add_f64 v[114:115], v[114:115], -v[128:129]
	v_add_f64 v[2:3], v[2:3], -v[130:131]
	v_accvgpr_read_b32 v124, a58
	s_waitcnt vmcnt(0)
	ds_write_b128 v4, v[104:107]
	ds_write_b128 v4, v[100:103] offset:960
	ds_write_b128 v4, v[108:111] offset:1920
	;; [unrolled: 1-line block ×5, first 2 shown]
	s_waitcnt lgkmcnt(0)
	s_barrier
	ds_read_b128 v[52:55], v240
	ds_read_b128 v[116:119], v240 offset:23040
	ds_read_b128 v[56:59], v240 offset:1536
	ds_read_b128 v[112:115], v240 offset:24576
	ds_read_b128 v[48:51], v240 offset:3072
	ds_read_b128 v[108:111], v240 offset:26112
	ds_read_b128 v[40:43], v240 offset:4608
	ds_read_b128 v[104:107], v240 offset:27648
	ds_read_b128 v[36:39], v240 offset:6144
	ds_read_b128 v[100:103], v240 offset:29184
	ds_read_b128 v[32:35], v240 offset:7680
	ds_read_b128 v[96:99], v240 offset:30720
	ds_read_b128 v[28:31], v240 offset:9216
	ds_read_b128 v[92:95], v240 offset:32256
	ds_read_b128 v[24:27], v240 offset:10752
	ds_read_b128 v[88:91], v240 offset:33792
	ds_read_b128 v[20:23], v240 offset:12288
	ds_read_b128 v[84:87], v240 offset:35328
	ds_read_b128 v[16:19], v240 offset:13824
	ds_read_b128 v[80:83], v240 offset:36864
	ds_read_b128 v[12:15], v240 offset:15360
	ds_read_b128 v[72:75], v240 offset:38400
	ds_read_b128 v[8:11], v240 offset:16896
	ds_read_b128 v[68:71], v240 offset:39936
	ds_read_b128 v[4:7], v240 offset:18432
	ds_read_b128 v[64:67], v240 offset:41472
	ds_read_b128 v[0:3], v240 offset:19968
	ds_read_b128 v[60:63], v240 offset:43008
	ds_read_b128 v[44:47], v240 offset:21504
	ds_read_b128 v[76:79], v240 offset:44544
	v_accvgpr_read_b32 v123, a57
	v_accvgpr_read_b32 v122, a56
	s_waitcnt lgkmcnt(14)
	v_mul_f64 v[120:121], v[124:125], v[118:119]
	v_fmac_f64_e32 v[120:121], v[122:123], v[116:117]
	v_mul_f64 v[116:117], v[124:125], v[116:117]
	v_fma_f64 v[116:117], v[122:123], v[118:119], -v[116:117]
	v_accvgpr_read_b32 v125, a71
	v_accvgpr_read_b32 v124, a70
	v_accvgpr_read_b32 v123, a69
	v_accvgpr_read_b32 v122, a68
	v_mul_f64 v[118:119], v[124:125], v[114:115]
	v_fmac_f64_e32 v[118:119], v[122:123], v[112:113]
	v_mul_f64 v[112:113], v[124:125], v[112:113]
	v_accvgpr_read_b32 v127, a67
	v_accvgpr_read_b32 v126, a66
	v_fma_f64 v[112:113], v[122:123], v[114:115], -v[112:113]
	v_accvgpr_read_b32 v125, a65
	v_accvgpr_read_b32 v124, a64
	v_mul_f64 v[122:123], v[126:127], v[110:111]
	v_fmac_f64_e32 v[122:123], v[124:125], v[108:109]
	v_mul_f64 v[108:109], v[126:127], v[108:109]
	v_fma_f64 v[108:109], v[124:125], v[110:111], -v[108:109]
	v_accvgpr_read_b32 v127, a63
	v_accvgpr_read_b32 v126, a62
	v_accvgpr_read_b32 v125, a61
	v_accvgpr_read_b32 v124, a60
	v_mul_f64 v[110:111], v[126:127], v[106:107]
	v_fmac_f64_e32 v[110:111], v[124:125], v[104:105]
	v_mul_f64 v[104:105], v[126:127], v[104:105]
	v_fma_f64 v[124:125], v[124:125], v[106:107], -v[104:105]
	v_accvgpr_read_b32 v107, a55
	v_accvgpr_read_b32 v106, a54
	;; [unrolled: 8-line block ×6, first 2 shown]
	v_accvgpr_read_b32 v89, a17
	v_accvgpr_read_b32 v88, a16
	s_waitcnt lgkmcnt(12)
	v_mul_f64 v[142:143], v[90:91], v[86:87]
	v_fmac_f64_e32 v[142:143], v[88:89], v[84:85]
	v_mul_f64 v[84:85], v[90:91], v[84:85]
	v_fma_f64 v[144:145], v[88:89], v[86:87], -v[84:85]
	v_accvgpr_read_b32 v87, a29
	v_accvgpr_read_b32 v86, a28
	v_accvgpr_read_b32 v85, a27
	v_accvgpr_read_b32 v84, a26
	s_waitcnt lgkmcnt(10)
	v_mul_f64 v[242:243], v[86:87], v[82:83]
	v_fmac_f64_e32 v[242:243], v[84:85], v[80:81]
	v_mul_f64 v[80:81], v[86:87], v[80:81]
	v_fma_f64 v[244:245], v[84:85], v[82:83], -v[80:81]
	v_accvgpr_read_b32 v83, a15
	v_accvgpr_read_b32 v82, a14
	;; [unrolled: 9-line block ×4, first 2 shown]
	v_accvgpr_read_b32 v69, a5
	v_accvgpr_read_b32 v68, a4
	s_waitcnt lgkmcnt(4)
	v_mul_f64 v[254:255], v[70:71], v[66:67]
	v_fmac_f64_e32 v[254:255], v[68:69], v[64:65]
	v_mul_f64 v[64:65], v[70:71], v[64:65]
	s_waitcnt lgkmcnt(2)
	v_mul_f64 v[70:71], v[238:239], v[62:63]
	v_fmac_f64_e32 v[70:71], v[236:237], v[60:61]
	v_mul_f64 v[60:61], v[238:239], v[60:61]
	v_fma_f64 v[236:237], v[236:237], v[62:63], -v[60:61]
	s_waitcnt lgkmcnt(0)
	v_mul_f64 v[238:239], v[230:231], v[78:79]
	v_mul_f64 v[60:61], v[230:231], v[76:77]
	v_fmac_f64_e32 v[238:239], v[228:229], v[76:77]
	v_fma_f64 v[228:229], v[228:229], v[78:79], -v[60:61]
	v_add_f64 v[60:61], v[24:25], -v[138:139]
	v_fma_f64 v[68:69], v[68:69], v[66:67], -v[64:65]
	v_add_f64 v[102:103], v[50:51], -v[108:109]
	v_add_f64 v[108:109], v[40:41], -v[110:111]
	;; [unrolled: 1-line block ×5, first 2 shown]
	v_fma_f64 v[124:125], v[24:25], 2.0, -v[60:61]
	v_add_f64 v[24:25], v[8:9], -v[250:251]
	v_add_f64 v[92:93], v[52:53], -v[120:121]
	v_add_f64 v[100:101], v[48:49], -v[122:123]
	v_fma_f64 v[120:121], v[40:41], 2.0, -v[108:109]
	v_add_f64 v[80:81], v[36:37], -v[126:127]
	v_fma_f64 v[84:85], v[32:33], 2.0, -v[72:73]
	v_fma_f64 v[76:77], v[28:29], 2.0, -v[64:65]
	v_add_f64 v[40:41], v[16:17], -v[242:243]
	v_add_f64 v[32:33], v[12:13], -v[246:247]
	v_fma_f64 v[28:29], v[8:9], 2.0, -v[24:25]
	v_add_f64 v[8:9], v[0:1], -v[70:71]
	v_add_f64 v[94:95], v[54:55], -v[116:117]
	v_fma_f64 v[104:105], v[52:53], 2.0, -v[92:93]
	v_add_f64 v[96:97], v[56:57], -v[118:119]
	v_fma_f64 v[116:117], v[48:49], 2.0, -v[100:101]
	v_fma_f64 v[88:89], v[36:37], 2.0, -v[80:81]
	v_add_f64 v[52:53], v[20:21], -v[142:143]
	v_fma_f64 v[48:49], v[16:17], 2.0, -v[40:41]
	;; [unrolled: 3-line block ×3, first 2 shown]
	v_add_f64 v[0:1], v[44:45], -v[238:239]
	v_fma_f64 v[106:107], v[54:55], 2.0, -v[94:95]
	v_add_f64 v[98:99], v[58:59], -v[112:113]
	v_fma_f64 v[112:113], v[56:57], 2.0, -v[96:97]
	v_fma_f64 v[122:123], v[42:43], 2.0, -v[110:111]
	v_add_f64 v[82:83], v[38:39], -v[128:129]
	v_add_f64 v[74:75], v[34:35], -v[132:133]
	v_add_f64 v[66:67], v[30:31], -v[136:137]
	v_add_f64 v[62:63], v[26:27], -v[140:141]
	v_fma_f64 v[56:57], v[20:21], 2.0, -v[52:53]
	v_fma_f64 v[20:21], v[4:5], 2.0, -v[16:17]
	v_fma_f64 v[4:5], v[44:45], 2.0, -v[0:1]
	v_accvgpr_read_b32 v44, a25
	v_fma_f64 v[114:115], v[58:59], 2.0, -v[98:99]
	v_fma_f64 v[118:119], v[50:51], 2.0, -v[102:103]
	;; [unrolled: 1-line block ×6, first 2 shown]
	v_add_f64 v[54:55], v[22:23], -v[144:145]
	s_barrier
	ds_write_b128 v240, v[104:107]
	ds_write_b128 v240, v[92:95] offset:5760
	ds_write_b128 v240, v[112:115] offset:1536
	;; [unrolled: 1-line block ×5, first 2 shown]
	ds_write_b128 v44, v[120:123]
	ds_write_b128 v44, v[108:111] offset:5760
	ds_write_b128 v240, v[88:91] offset:11904
	;; [unrolled: 1-line block ×7, first 2 shown]
	v_accvgpr_read_b32 v44, a31
	v_fma_f64 v[58:59], v[22:23], 2.0, -v[54:55]
	v_add_f64 v[42:43], v[18:19], -v[244:245]
	ds_write_b128 v44, v[124:127]
	ds_write_b128 v44, v[60:63] offset:5760
	v_accvgpr_read_b32 v44, a232
	v_fma_f64 v[50:51], v[18:19], 2.0, -v[42:43]
	v_add_f64 v[34:35], v[14:15], -v[248:249]
	ds_write_b128 v44, v[56:59] offset:23040
	ds_write_b128 v44, v[52:55] offset:28800
	v_accvgpr_read_b32 v44, a24
	v_fma_f64 v[38:39], v[14:15], 2.0, -v[34:35]
	v_add_f64 v[26:27], v[10:11], -v[252:253]
	ds_write_b128 v44, v[48:51] offset:23040
	;; [unrolled: 5-line block ×3, first 2 shown]
	ds_write_b128 v40, v[32:35] offset:28800
	v_accvgpr_read_b32 v32, a137
	v_fma_f64 v[22:23], v[6:7], 2.0, -v[18:19]
	v_add_f64 v[10:11], v[2:3], -v[236:237]
	ds_write_b128 v32, v[28:31]
	ds_write_b128 v32, v[24:27] offset:5760
	v_accvgpr_read_b32 v24, a30
	v_fma_f64 v[14:15], v[2:3], 2.0, -v[10:11]
	v_add_f64 v[2:3], v[46:47], -v[228:229]
	ds_write_b128 v24, v[20:23] offset:34560
	ds_write_b128 v24, v[16:19] offset:40320
	v_accvgpr_read_b32 v16, a226
	v_accvgpr_read_b32 v125, a23
	v_fma_f64 v[6:7], v[46:47], 2.0, -v[2:3]
	ds_write_b128 v16, v[12:15] offset:34560
	ds_write_b128 v16, v[8:11] offset:40320
	v_accvgpr_read_b32 v8, a136
	v_accvgpr_read_b32 v124, a22
	ds_write_b128 v8, v[4:7] offset:34560
	ds_write_b128 v8, v[0:3] offset:40320
	s_waitcnt lgkmcnt(0)
	s_barrier
	ds_read_b128 v[52:55], v240
	ds_read_b128 v[116:119], v240 offset:23040
	ds_read_b128 v[56:59], v240 offset:1536
	;; [unrolled: 1-line block ×29, first 2 shown]
	v_accvgpr_read_b32 v123, a21
	v_accvgpr_read_b32 v122, a20
	s_waitcnt lgkmcnt(14)
	v_mul_f64 v[120:121], v[124:125], v[118:119]
	v_fmac_f64_e32 v[120:121], v[122:123], v[116:117]
	v_mul_f64 v[116:117], v[124:125], v[116:117]
	v_fma_f64 v[116:117], v[122:123], v[118:119], -v[116:117]
	v_accvgpr_read_b32 v125, a35
	v_accvgpr_read_b32 v124, a34
	v_accvgpr_read_b32 v123, a33
	v_accvgpr_read_b32 v122, a32
	v_mul_f64 v[118:119], v[124:125], v[114:115]
	v_fmac_f64_e32 v[118:119], v[122:123], v[112:113]
	v_mul_f64 v[112:113], v[124:125], v[112:113]
	v_fma_f64 v[112:113], v[122:123], v[114:115], -v[112:113]
	v_accvgpr_read_b32 v125, a39
	v_accvgpr_read_b32 v124, a38
	v_accvgpr_read_b32 v123, a37
	v_accvgpr_read_b32 v122, a36
	;; [unrolled: 8-line block ×7, first 2 shown]
	v_mul_f64 v[128:129], v[94:95], v[90:91]
	v_fmac_f64_e32 v[128:129], v[92:93], v[88:89]
	v_mul_f64 v[88:89], v[94:95], v[88:89]
	v_fma_f64 v[130:131], v[92:93], v[90:91], -v[88:89]
	v_accvgpr_read_b32 v91, a3
	s_waitcnt lgkmcnt(6)
	v_mul_f64 v[144:145], v[222:223], v[70:71]
	v_accvgpr_read_b32 v90, a2
	v_fmac_f64_e32 v[144:145], v[220:221], v[68:69]
	v_mul_f64 v[68:69], v[222:223], v[68:69]
	s_waitcnt lgkmcnt(4)
	v_mul_f64 v[222:223], v[218:219], v[66:67]
	v_accvgpr_read_b32 v89, a1
	v_accvgpr_read_b32 v88, a0
	v_mul_f64 v[132:133], v[90:91], v[86:87]
	v_mul_f64 v[140:141], v[226:227], v[74:75]
	v_fmac_f64_e32 v[222:223], v[216:217], v[64:65]
	v_mul_f64 v[64:65], v[218:219], v[64:65]
	s_waitcnt lgkmcnt(2)
	v_mul_f64 v[218:219], v[214:215], v[62:63]
	v_fmac_f64_e32 v[132:133], v[88:89], v[84:85]
	v_mul_f64 v[84:85], v[90:91], v[84:85]
	v_fmac_f64_e32 v[140:141], v[224:225], v[72:73]
	;; [unrolled: 2-line block ×3, first 2 shown]
	v_mul_f64 v[60:61], v[214:215], v[60:61]
	v_fma_f64 v[134:135], v[88:89], v[86:87], -v[84:85]
	v_mul_f64 v[136:137], v[234:235], v[82:83]
	v_fma_f64 v[142:143], v[224:225], v[74:75], -v[72:73]
	v_fma_f64 v[212:213], v[212:213], v[62:63], -v[60:61]
	s_waitcnt lgkmcnt(0)
	v_mul_f64 v[214:215], v[202:203], v[78:79]
	v_mul_f64 v[60:61], v[202:203], v[76:77]
	v_add_f64 v[86:87], v[42:43], -v[100:101]
	v_add_f64 v[92:93], v[36:37], -v[102:103]
	;; [unrolled: 1-line block ×4, first 2 shown]
	v_fmac_f64_e32 v[136:137], v[232:233], v[80:81]
	v_mul_f64 v[80:81], v[234:235], v[80:81]
	v_fma_f64 v[216:217], v[216:217], v[66:67], -v[64:65]
	v_fmac_f64_e32 v[214:215], v[200:201], v[76:77]
	v_fma_f64 v[200:201], v[200:201], v[78:79], -v[60:61]
	v_add_f64 v[62:63], v[54:55], -v[116:117]
	v_add_f64 v[64:65], v[56:57], -v[118:119]
	;; [unrolled: 1-line block ×4, first 2 shown]
	v_fma_f64 v[116:117], v[28:29], 2.0, -v[100:101]
	v_fma_f64 v[118:119], v[30:31], 2.0, -v[102:103]
	v_add_f64 v[28:29], v[12:13], -v[140:141]
	v_add_f64 v[30:31], v[14:15], -v[142:143]
	v_fma_f64 v[138:139], v[232:233], v[82:83], -v[80:81]
	v_fma_f64 v[220:221], v[220:221], v[70:71], -v[68:69]
	v_add_f64 v[68:69], v[48:49], -v[114:115]
	v_add_f64 v[70:71], v[50:51], -v[108:109]
	v_fma_f64 v[96:97], v[44:45], 2.0, -v[76:77]
	v_fma_f64 v[98:99], v[46:47], 2.0, -v[78:79]
	v_add_f64 v[84:85], v[40:41], -v[106:107]
	v_add_f64 v[108:109], v[24:25], -v[128:129]
	;; [unrolled: 1-line block ×3, first 2 shown]
	v_fma_f64 v[44:45], v[12:13], 2.0, -v[28:29]
	v_fma_f64 v[46:47], v[14:15], 2.0, -v[30:31]
	v_add_f64 v[12:13], v[4:5], -v[222:223]
	v_add_f64 v[14:15], v[6:7], -v[216:217]
	;; [unrolled: 1-line block ×4, first 2 shown]
	v_fma_f64 v[88:89], v[48:49], 2.0, -v[68:69]
	v_fma_f64 v[90:91], v[50:51], 2.0, -v[70:71]
	;; [unrolled: 1-line block ×4, first 2 shown]
	v_add_f64 v[94:95], v[38:39], -v[122:123]
	v_fma_f64 v[120:121], v[24:25], 2.0, -v[108:109]
	v_fma_f64 v[122:123], v[26:27], 2.0, -v[110:111]
	v_add_f64 v[48:49], v[20:21], -v[132:133]
	v_add_f64 v[50:51], v[22:23], -v[134:135]
	;; [unrolled: 1-line block ×4, first 2 shown]
	v_fma_f64 v[24:25], v[4:5], 2.0, -v[12:13]
	v_fma_f64 v[26:27], v[6:7], 2.0, -v[14:15]
	v_add_f64 v[4:5], v[0:1], -v[218:219]
	v_add_f64 v[6:7], v[2:3], -v[212:213]
	v_fma_f64 v[72:73], v[52:53], 2.0, -v[60:61]
	v_fma_f64 v[74:75], v[54:55], 2.0, -v[62:63]
	;; [unrolled: 1-line block ×8, first 2 shown]
	v_add_f64 v[20:21], v[8:9], -v[144:145]
	v_add_f64 v[22:23], v[10:11], -v[220:221]
	v_fma_f64 v[16:17], v[0:1], 2.0, -v[4:5]
	v_fma_f64 v[18:19], v[2:3], 2.0, -v[6:7]
	v_add_f64 v[0:1], v[32:33], -v[214:215]
	v_add_f64 v[2:3], v[34:35], -v[200:201]
	v_fma_f64 v[112:113], v[36:37], 2.0, -v[92:93]
	v_fma_f64 v[114:115], v[38:39], 2.0, -v[94:95]
	v_fma_f64 v[36:37], v[8:9], 2.0, -v[20:21]
	v_fma_f64 v[38:39], v[10:11], 2.0, -v[22:23]
	v_fma_f64 v[8:9], v[32:33], 2.0, -v[0:1]
	v_fma_f64 v[10:11], v[34:35], 2.0, -v[2:3]
	s_barrier
	ds_write_b128 v240, v[72:75]
	ds_write_b128 v240, v[60:63] offset:11520
	ds_write_b128 v240, v[80:83] offset:1536
	;; [unrolled: 1-line block ×13, first 2 shown]
	ds_write_b128 v179, v[120:123]
	ds_write_b128 v179, v[108:111] offset:11520
	ds_write_b128 v240, v[56:59] offset:23808
	;; [unrolled: 1-line block ×15, first 2 shown]
	s_waitcnt lgkmcnt(0)
	s_barrier
	ds_read_b128 v[24:27], v240
	ds_read_b128 v[64:67], v240 offset:23040
	ds_read_b128 v[36:39], v240 offset:1536
	;; [unrolled: 1-line block ×29, first 2 shown]
	s_waitcnt lgkmcnt(14)
	v_mul_f64 v[120:121], v[210:211], v[66:67]
	v_fmac_f64_e32 v[120:121], v[208:209], v[64:65]
	v_mul_f64 v[64:65], v[210:211], v[64:65]
	v_fma_f64 v[64:65], v[208:209], v[66:67], -v[64:65]
	v_mul_f64 v[66:67], v[206:207], v[86:87]
	v_fmac_f64_e32 v[66:67], v[204:205], v[84:85]
	v_mul_f64 v[84:85], v[206:207], v[84:85]
	v_fma_f64 v[84:85], v[204:205], v[86:87], -v[84:85]
	;; [unrolled: 4-line block ×8, first 2 shown]
	s_waitcnt lgkmcnt(12)
	v_mul_f64 v[102:103], v[172:173], v[98:99]
	s_waitcnt lgkmcnt(2)
	v_mul_f64 v[136:137], v[152:153], v[62:63]
	v_fmac_f64_e32 v[102:103], v[170:171], v[96:97]
	v_mul_f64 v[96:97], v[172:173], v[96:97]
	v_fmac_f64_e32 v[136:137], v[150:151], v[60:61]
	v_mul_f64 v[60:61], v[152:153], v[60:61]
	v_fma_f64 v[96:97], v[170:171], v[98:99], -v[96:97]
	v_mul_f64 v[98:99], v[168:169], v[90:91]
	v_mul_f64 v[124:125], v[164:165], v[82:83]
	;; [unrolled: 1-line block ×4, first 2 shown]
	v_fma_f64 v[138:139], v[150:151], v[62:63], -v[60:61]
	s_waitcnt lgkmcnt(0)
	v_mul_f64 v[60:61], v[148:149], v[72:73]
	v_fmac_f64_e32 v[98:99], v[166:167], v[88:89]
	v_mul_f64 v[88:89], v[168:169], v[88:89]
	v_fmac_f64_e32 v[124:125], v[162:163], v[80:81]
	;; [unrolled: 2-line block ×4, first 2 shown]
	v_mul_f64 v[68:69], v[156:157], v[68:69]
	v_mul_f64 v[140:141], v[148:149], v[74:75]
	v_fma_f64 v[142:143], v[146:147], v[74:75], -v[60:61]
	v_fma_f64 v[122:123], v[166:167], v[90:91], -v[88:89]
	;; [unrolled: 1-line block ×5, first 2 shown]
	v_fmac_f64_e32 v[140:141], v[146:147], v[72:73]
	v_add_f64 v[60:61], v[24:25], -v[120:121]
	v_add_f64 v[62:63], v[26:27], -v[64:65]
	;; [unrolled: 1-line block ×6, first 2 shown]
	v_fma_f64 v[24:25], v[24:25], 2.0, -v[60:61]
	v_fma_f64 v[26:27], v[26:27], 2.0, -v[62:63]
	v_add_f64 v[64:65], v[36:37], -v[66:67]
	v_add_f64 v[66:67], v[38:39], -v[84:85]
	;; [unrolled: 1-line block ×21, first 2 shown]
	v_fma_f64 v[8:9], v[8:9], 2.0, -v[108:109]
	v_add_f64 v[112:113], v[0:1], -v[136:137]
	v_add_f64 v[114:115], v[2:3], -v[138:139]
	;; [unrolled: 1-line block ×3, first 2 shown]
	v_fma_f64 v[6:7], v[6:7], 2.0, -v[118:119]
	v_fma_f64 v[36:37], v[36:37], 2.0, -v[64:65]
	;; [unrolled: 1-line block ×27, first 2 shown]
	ds_write_b128 v240, v[24:27]
	ds_write_b128 v240, v[60:63] offset:23040
	ds_write_b128 v240, v[36:39] offset:1536
	ds_write_b128 v240, v[64:67] offset:24576
	ds_write_b128 v240, v[32:35] offset:3072
	ds_write_b128 v240, v[68:71] offset:26112
	ds_write_b128 v240, v[52:55] offset:4608
	ds_write_b128 v240, v[72:75] offset:27648
	ds_write_b128 v240, v[48:51] offset:6144
	ds_write_b128 v240, v[76:79] offset:29184
	ds_write_b128 v240, v[56:59] offset:7680
	ds_write_b128 v240, v[80:83] offset:30720
	ds_write_b128 v240, v[44:47] offset:9216
	ds_write_b128 v240, v[84:87] offset:32256
	ds_write_b128 v240, v[40:43] offset:10752
	ds_write_b128 v240, v[88:91] offset:33792
	ds_write_b128 v240, v[28:31] offset:12288
	ds_write_b128 v240, v[92:95] offset:35328
	ds_write_b128 v240, v[20:23] offset:13824
	ds_write_b128 v240, v[96:99] offset:36864
	ds_write_b128 v240, v[16:19] offset:15360
	ds_write_b128 v240, v[100:103] offset:38400
	ds_write_b128 v240, v[12:15] offset:16896
	ds_write_b128 v240, v[104:107] offset:39936
	ds_write_b128 v240, v[8:11] offset:18432
	ds_write_b128 v240, v[108:111] offset:41472
	ds_write_b128 v240, v[0:3] offset:19968
	ds_write_b128 v240, v[112:115] offset:43008
	ds_write_b128 v240, v[4:7] offset:21504
	ds_write_b128 v240, v[116:119] offset:44544
	s_waitcnt lgkmcnt(0)
	s_barrier
	scratch_load_dwordx4 v[6:9], off, off offset:84 ; 16-byte Folded Reload
	ds_read_b128 v[0:3], v240
	s_waitcnt vmcnt(0) lgkmcnt(0)
	v_mul_f64 v[4:5], v[8:9], v[2:3]
	v_fmac_f64_e32 v[4:5], v[6:7], v[0:1]
	v_mul_f64 v[0:1], v[8:9], v[0:1]
	v_fma_f64 v[0:1], v[6:7], v[2:3], -v[0:1]
	v_mad_u64_u32 v[2:3], s[4:5], s0, v178, 0
	v_mul_f64 v[6:7], v[0:1], s[2:3]
	v_mov_b32_e32 v0, v3
	v_mad_u64_u32 v[0:1], s[4:5], s1, v178, v[0:1]
	v_mov_b32_e32 v3, v0
	scratch_load_dwordx2 v[0:1], off, off offset:516 ; 8-byte Folded Reload
	scratch_load_dwordx2 v[8:9], off, off offset:632 ; 8-byte Folded Reload
	scratch_load_dwordx4 v[12:15], off, off offset:148 ; 16-byte Folded Reload
	v_mul_f64 v[4:5], v[4:5], s[2:3]
	s_waitcnt vmcnt(1)
	v_lshl_add_u64 v[0:1], v[8:9], 4, v[0:1]
	v_lshl_add_u64 v[10:11], v[2:3], 4, v[0:1]
	global_store_dwordx4 v[10:11], v[4:7], off
	ds_read_b128 v[2:5], v240 offset:4608
	s_waitcnt vmcnt(1) lgkmcnt(0)
	v_mul_f64 v[6:7], v[14:15], v[4:5]
	v_fmac_f64_e32 v[6:7], v[12:13], v[2:3]
	v_mul_f64 v[2:3], v[14:15], v[2:3]
	scratch_load_dwordx4 v[14:17], off, off offset:276 ; 16-byte Folded Reload
	v_fma_f64 v[2:3], v[12:13], v[4:5], -v[2:3]
	v_mul_f64 v[8:9], v[2:3], s[2:3]
	ds_read_b128 v[2:5], v240 offset:9216
	v_mov_b32_e32 v12, 0x1200
	v_mad_u64_u32 v[10:11], s[4:5], s0, v12, v[10:11]
	s_mul_i32 s4, s1, 0x1200
	v_mul_f64 v[6:7], v[6:7], s[2:3]
	v_add_u32_e32 v11, s4, v11
	global_store_dwordx4 v[10:11], v[6:9], off
	v_mad_u64_u32 v[10:11], s[6:7], s0, v12, v[10:11]
	v_add_u32_e32 v11, s4, v11
	s_mul_i32 s5, s1, 0x2400
	v_mov_b32_e32 v13, 0x1200
	s_waitcnt vmcnt(1) lgkmcnt(0)
	v_mul_f64 v[6:7], v[16:17], v[4:5]
	v_fmac_f64_e32 v[6:7], v[14:15], v[2:3]
	v_mul_f64 v[2:3], v[16:17], v[2:3]
	v_fma_f64 v[2:3], v[14:15], v[4:5], -v[2:3]
	scratch_load_dwordx4 v[14:17], off, off offset:340 ; 16-byte Folded Reload
	v_mul_f64 v[8:9], v[2:3], s[2:3]
	ds_read_b128 v[2:5], v240 offset:13824
	v_mul_f64 v[6:7], v[6:7], s[2:3]
	global_store_dwordx4 v[10:11], v[6:9], off
	v_mad_u64_u32 v[10:11], s[6:7], s0, v12, v[10:11]
	v_add_u32_e32 v11, s4, v11
	v_mov_b32_e32 v12, 0x2400
	s_waitcnt vmcnt(1) lgkmcnt(0)
	v_mul_f64 v[6:7], v[16:17], v[4:5]
	v_fmac_f64_e32 v[6:7], v[14:15], v[2:3]
	v_mul_f64 v[2:3], v[16:17], v[2:3]
	v_fma_f64 v[2:3], v[14:15], v[4:5], -v[2:3]
	scratch_load_dwordx4 v[14:17], off, off offset:380 ; 16-byte Folded Reload
	v_mul_f64 v[8:9], v[2:3], s[2:3]
	ds_read_b128 v[2:5], v240 offset:18432
	v_mul_f64 v[6:7], v[6:7], s[2:3]
	global_store_dwordx4 v[10:11], v[6:9], off
	v_mad_u64_u32 v[10:11], s[6:7], s0, v12, v[10:11]
	v_add_u32_e32 v11, s5, v11
	s_waitcnt vmcnt(1) lgkmcnt(0)
	v_mul_f64 v[6:7], v[16:17], v[4:5]
	v_fmac_f64_e32 v[6:7], v[14:15], v[2:3]
	v_mul_f64 v[2:3], v[16:17], v[2:3]
	v_fma_f64 v[2:3], v[14:15], v[4:5], -v[2:3]
	scratch_load_dword v5, off, off offset:376 ; 4-byte Folded Reload
	scratch_load_dwordx4 v[14:17], off, off offset:416 ; 16-byte Folded Reload
	v_mul_f64 v[8:9], v[2:3], s[2:3]
	v_mul_f64 v[6:7], v[6:7], s[2:3]
	s_waitcnt vmcnt(1)
	v_mad_u64_u32 v[2:3], s[6:7], s0, v5, 0
	v_mov_b32_e32 v4, v3
	v_mad_u64_u32 v[4:5], s[6:7], s1, v5, v[4:5]
	v_mov_b32_e32 v3, v4
	v_lshl_add_u64 v[2:3], v[2:3], 4, v[0:1]
	global_store_dwordx4 v[2:3], v[6:9], off
	ds_read_b128 v[2:5], v240 offset:23040
	s_waitcnt vmcnt(1) lgkmcnt(0)
	v_mul_f64 v[6:7], v[16:17], v[4:5]
	v_fmac_f64_e32 v[6:7], v[14:15], v[2:3]
	v_mul_f64 v[2:3], v[16:17], v[2:3]
	v_fma_f64 v[2:3], v[14:15], v[4:5], -v[2:3]
	scratch_load_dwordx4 v[14:17], off, off offset:448 ; 16-byte Folded Reload
	v_mul_f64 v[8:9], v[2:3], s[2:3]
	ds_read_b128 v[2:5], v240 offset:27648
	v_mul_f64 v[6:7], v[6:7], s[2:3]
	global_store_dwordx4 v[10:11], v[6:9], off
	v_mad_u64_u32 v[10:11], s[6:7], s0, v13, v[10:11]
	v_add_u32_e32 v11, s4, v11
	s_waitcnt vmcnt(1) lgkmcnt(0)
	v_mul_f64 v[6:7], v[16:17], v[4:5]
	v_fmac_f64_e32 v[6:7], v[14:15], v[2:3]
	v_mul_f64 v[2:3], v[16:17], v[2:3]
	v_fma_f64 v[2:3], v[14:15], v[4:5], -v[2:3]
	scratch_load_dwordx4 v[14:17], off, off offset:464 ; 16-byte Folded Reload
	v_mul_f64 v[8:9], v[2:3], s[2:3]
	ds_read_b128 v[2:5], v240 offset:32256
	v_mul_f64 v[6:7], v[6:7], s[2:3]
	global_store_dwordx4 v[10:11], v[6:9], off
	v_mad_u64_u32 v[10:11], s[6:7], s0, v13, v[10:11]
	v_add_u32_e32 v11, s4, v11
	s_waitcnt vmcnt(1) lgkmcnt(0)
	v_mul_f64 v[6:7], v[16:17], v[4:5]
	v_fmac_f64_e32 v[6:7], v[14:15], v[2:3]
	v_mul_f64 v[2:3], v[16:17], v[2:3]
	v_fma_f64 v[2:3], v[14:15], v[4:5], -v[2:3]
	scratch_load_dwordx4 v[14:17], off, off offset:480 ; 16-byte Folded Reload
	v_mul_f64 v[8:9], v[2:3], s[2:3]
	ds_read_b128 v[2:5], v240 offset:36864
	v_mul_f64 v[6:7], v[6:7], s[2:3]
	global_store_dwordx4 v[10:11], v[6:9], off
	s_waitcnt vmcnt(1) lgkmcnt(0)
	s_nop 0
	v_mul_f64 v[6:7], v[16:17], v[4:5]
	v_fmac_f64_e32 v[6:7], v[14:15], v[2:3]
	v_mul_f64 v[2:3], v[16:17], v[2:3]
	v_fma_f64 v[2:3], v[14:15], v[4:5], -v[2:3]
	scratch_load_dword v5, off, off offset:300 ; 4-byte Folded Reload
	scratch_load_dwordx4 v[14:17], off, off offset:500 ; 16-byte Folded Reload
	v_mul_f64 v[8:9], v[2:3], s[2:3]
	v_mul_f64 v[6:7], v[6:7], s[2:3]
	s_waitcnt vmcnt(1)
	v_mad_u64_u32 v[2:3], s[6:7], s0, v5, 0
	v_mov_b32_e32 v4, v3
	v_mad_u64_u32 v[4:5], s[6:7], s1, v5, v[4:5]
	v_mov_b32_e32 v3, v4
	v_lshl_add_u64 v[2:3], v[2:3], 4, v[0:1]
	global_store_dwordx4 v[2:3], v[6:9], off
	ds_read_b128 v[2:5], v240 offset:41472
	s_waitcnt vmcnt(1) lgkmcnt(0)
	v_mul_f64 v[6:7], v[16:17], v[4:5]
	v_fmac_f64_e32 v[6:7], v[14:15], v[2:3]
	v_mul_f64 v[2:3], v[16:17], v[2:3]
	v_fma_f64 v[2:3], v[14:15], v[4:5], -v[2:3]
	v_mul_f64 v[8:9], v[2:3], s[2:3]
	v_mad_u64_u32 v[2:3], s[6:7], s0, v12, v[10:11]
	scratch_load_dwordx4 v[10:13], off, off offset:20 ; 16-byte Folded Reload
	v_mul_f64 v[6:7], v[6:7], s[2:3]
	v_add_u32_e32 v3, s5, v3
	global_store_dwordx4 v[2:3], v[6:9], off
	ds_read_b128 v[4:7], v240 offset:1536
	scratch_load_dwordx4 v[16:19], off, off offset:180 ; 16-byte Folded Reload
	v_mov_b32_e32 v14, 0x2400
	v_mov_b32_e32 v15, 0x1200
	s_waitcnt vmcnt(2) lgkmcnt(0)
	v_mul_f64 v[8:9], v[12:13], v[6:7]
	v_fmac_f64_e32 v[8:9], v[10:11], v[4:5]
	v_mul_f64 v[4:5], v[12:13], v[4:5]
	v_fma_f64 v[4:5], v[10:11], v[6:7], -v[4:5]
	v_mul_f64 v[10:11], v[4:5], s[2:3]
	v_mov_b32_e32 v4, 0xffff6400
	v_mad_u64_u32 v[12:13], s[6:7], s0, v4, v[2:3]
	s_mul_i32 s6, s1, 0xffff6400
	s_sub_i32 s6, s6, s0
	v_mul_f64 v[8:9], v[8:9], s[2:3]
	v_add_u32_e32 v13, s6, v13
	global_store_dwordx4 v[12:13], v[8:11], off
	scratch_load_dwordx4 v[8:11], off, off offset:100 ; 16-byte Folded Reload
	ds_read_b128 v[2:5], v240 offset:6144
	s_waitcnt vmcnt(0) lgkmcnt(0)
	v_mul_f64 v[6:7], v[10:11], v[4:5]
	v_fmac_f64_e32 v[6:7], v[8:9], v[2:3]
	v_mul_f64 v[2:3], v[10:11], v[2:3]
	v_fma_f64 v[2:3], v[8:9], v[4:5], -v[2:3]
	scratch_load_dword v5, off, off offset:304 ; 4-byte Folded Reload
	v_mul_f64 v[8:9], v[2:3], s[2:3]
	v_mul_f64 v[6:7], v[6:7], s[2:3]
	s_waitcnt vmcnt(0)
	v_mad_u64_u32 v[2:3], s[6:7], s0, v5, 0
	v_mov_b32_e32 v4, v3
	v_mad_u64_u32 v[4:5], s[6:7], s1, v5, v[4:5]
	v_mov_b32_e32 v3, v4
	v_lshl_add_u64 v[2:3], v[2:3], 4, v[0:1]
	global_store_dwordx4 v[2:3], v[6:9], off
	scratch_load_dwordx4 v[8:11], off, off offset:132 ; 16-byte Folded Reload
	ds_read_b128 v[2:5], v240 offset:10752
	s_waitcnt vmcnt(0) lgkmcnt(0)
	v_mul_f64 v[6:7], v[10:11], v[4:5]
	v_fmac_f64_e32 v[6:7], v[8:9], v[2:3]
	v_mul_f64 v[2:3], v[10:11], v[2:3]
	v_fma_f64 v[2:3], v[8:9], v[4:5], -v[2:3]
	v_mul_f64 v[8:9], v[2:3], s[2:3]
	ds_read_b128 v[2:5], v240 offset:15360
	v_mad_u64_u32 v[10:11], s[6:7], s0, v14, v[12:13]
	v_mul_f64 v[6:7], v[6:7], s[2:3]
	v_add_u32_e32 v11, s5, v11
	global_store_dwordx4 v[10:11], v[6:9], off
	v_mov_b32_e32 v12, 0x1200
	v_mad_u64_u32 v[10:11], s[6:7], s0, v12, v[10:11]
	s_waitcnt lgkmcnt(0)
	v_mul_f64 v[6:7], v[18:19], v[4:5]
	v_fmac_f64_e32 v[6:7], v[16:17], v[2:3]
	v_mul_f64 v[2:3], v[18:19], v[2:3]
	v_fma_f64 v[2:3], v[16:17], v[4:5], -v[2:3]
	scratch_load_dwordx4 v[16:19], off, off offset:196 ; 16-byte Folded Reload
	v_mul_f64 v[8:9], v[2:3], s[2:3]
	ds_read_b128 v[2:5], v240 offset:19968
	v_mul_f64 v[6:7], v[6:7], s[2:3]
	v_add_u32_e32 v11, s4, v11
	global_store_dwordx4 v[10:11], v[6:9], off
	v_mad_u64_u32 v[10:11], s[6:7], s0, v12, v[10:11]
	v_add_u32_e32 v11, s4, v11
	s_waitcnt vmcnt(1) lgkmcnt(0)
	v_mul_f64 v[6:7], v[18:19], v[4:5]
	v_fmac_f64_e32 v[6:7], v[16:17], v[2:3]
	v_mul_f64 v[2:3], v[18:19], v[2:3]
	v_fma_f64 v[2:3], v[16:17], v[4:5], -v[2:3]
	scratch_load_dwordx4 v[16:19], off, off offset:244 ; 16-byte Folded Reload
	v_mul_f64 v[8:9], v[2:3], s[2:3]
	ds_read_b128 v[2:5], v240 offset:24576
	v_mul_f64 v[6:7], v[6:7], s[2:3]
	global_store_dwordx4 v[10:11], v[6:9], off
	v_mad_u64_u32 v[10:11], s[6:7], s0, v14, v[10:11]
	v_add_u32_e32 v11, s5, v11
	s_waitcnt vmcnt(1) lgkmcnt(0)
	v_mul_f64 v[6:7], v[18:19], v[4:5]
	v_fmac_f64_e32 v[6:7], v[16:17], v[2:3]
	v_mul_f64 v[2:3], v[18:19], v[2:3]
	v_fma_f64 v[2:3], v[16:17], v[4:5], -v[2:3]
	scratch_load_dword v5, off, off offset:292 ; 4-byte Folded Reload
	scratch_load_dwordx4 v[16:19], off, off offset:212 ; 16-byte Folded Reload
	v_mul_f64 v[8:9], v[2:3], s[2:3]
	v_mul_f64 v[6:7], v[6:7], s[2:3]
	s_waitcnt vmcnt(1)
	v_mad_u64_u32 v[2:3], s[6:7], s0, v5, 0
	v_mov_b32_e32 v4, v3
	v_mad_u64_u32 v[4:5], s[6:7], s1, v5, v[4:5]
	v_mov_b32_e32 v3, v4
	v_lshl_add_u64 v[2:3], v[2:3], 4, v[0:1]
	global_store_dwordx4 v[2:3], v[6:9], off
	ds_read_b128 v[2:5], v240 offset:29184
	s_waitcnt vmcnt(1) lgkmcnt(0)
	v_mul_f64 v[6:7], v[18:19], v[4:5]
	v_fmac_f64_e32 v[6:7], v[16:17], v[2:3]
	v_mul_f64 v[2:3], v[18:19], v[2:3]
	v_fma_f64 v[2:3], v[16:17], v[4:5], -v[2:3]
	scratch_load_dwordx4 v[16:19], off, off offset:228 ; 16-byte Folded Reload
	v_mul_f64 v[8:9], v[2:3], s[2:3]
	ds_read_b128 v[2:5], v240 offset:33792
	v_mul_f64 v[6:7], v[6:7], s[2:3]
	global_store_dwordx4 v[10:11], v[6:9], off
	v_mad_u64_u32 v[10:11], s[6:7], s0, v15, v[10:11]
	v_add_u32_e32 v11, s4, v11
	s_waitcnt vmcnt(1) lgkmcnt(0)
	v_mul_f64 v[6:7], v[18:19], v[4:5]
	v_fmac_f64_e32 v[6:7], v[16:17], v[2:3]
	v_mul_f64 v[2:3], v[18:19], v[2:3]
	v_fma_f64 v[2:3], v[16:17], v[4:5], -v[2:3]
	scratch_load_dwordx4 v[16:19], off, off offset:260 ; 16-byte Folded Reload
	v_mul_f64 v[8:9], v[2:3], s[2:3]
	ds_read_b128 v[2:5], v240 offset:38400
	v_mul_f64 v[6:7], v[6:7], s[2:3]
	global_store_dwordx4 v[10:11], v[6:9], off
	s_waitcnt vmcnt(1) lgkmcnt(0)
	s_nop 0
	v_mul_f64 v[6:7], v[18:19], v[4:5]
	v_fmac_f64_e32 v[6:7], v[16:17], v[2:3]
	v_mul_f64 v[2:3], v[18:19], v[2:3]
	v_fma_f64 v[2:3], v[16:17], v[4:5], -v[2:3]
	v_mul_f64 v[8:9], v[2:3], s[2:3]
	v_mad_u64_u32 v[2:3], s[6:7], s0, v15, v[10:11]
	scratch_load_dwordx4 v[10:13], off, off offset:308 ; 16-byte Folded Reload
	v_mul_f64 v[6:7], v[6:7], s[2:3]
	v_add_u32_e32 v3, s4, v3
	global_store_dwordx4 v[2:3], v[6:9], off
	ds_read_b128 v[4:7], v240 offset:43008
	scratch_load_dwordx4 v[16:19], off, off offset:68 ; 16-byte Folded Reload
	s_waitcnt vmcnt(2) lgkmcnt(0)
	v_mul_f64 v[8:9], v[12:13], v[6:7]
	v_fmac_f64_e32 v[8:9], v[10:11], v[4:5]
	v_mul_f64 v[4:5], v[12:13], v[4:5]
	v_fma_f64 v[4:5], v[10:11], v[6:7], -v[4:5]
	scratch_load_dword v7, off, off offset:16 ; 4-byte Folded Reload
	v_mul_f64 v[10:11], v[4:5], s[2:3]
	v_mul_f64 v[8:9], v[8:9], s[2:3]
	s_waitcnt vmcnt(0)
	v_mad_u64_u32 v[4:5], s[6:7], s0, v7, 0
	v_mov_b32_e32 v6, v5
	v_mad_u64_u32 v[6:7], s[6:7], s1, v7, v[6:7]
	v_mov_b32_e32 v5, v6
	v_lshl_add_u64 v[4:5], v[4:5], 4, v[0:1]
	global_store_dwordx4 v[4:5], v[8:11], off
	scratch_load_dwordx4 v[10:13], off, off ; 16-byte Folded Reload
	ds_read_b128 v[4:7], v240 offset:3072
	s_waitcnt vmcnt(0) lgkmcnt(0)
	v_mul_f64 v[8:9], v[12:13], v[6:7]
	v_fmac_f64_e32 v[8:9], v[10:11], v[4:5]
	v_mul_f64 v[4:5], v[12:13], v[4:5]
	v_fma_f64 v[4:5], v[10:11], v[6:7], -v[4:5]
	v_mul_f64 v[10:11], v[4:5], s[2:3]
	v_mov_b32_e32 v4, 0xffff7600
	v_mad_u64_u32 v[12:13], s[6:7], s0, v4, v[2:3]
	s_mul_i32 s6, s1, 0xffff7600
	s_sub_i32 s6, s6, s0
	v_mul_f64 v[8:9], v[8:9], s[2:3]
	v_add_u32_e32 v13, s6, v13
	global_store_dwordx4 v[12:13], v[8:11], off
	scratch_load_dwordx4 v[8:11], off, off offset:324 ; 16-byte Folded Reload
	ds_read_b128 v[2:5], v240 offset:7680
	s_waitcnt vmcnt(0) lgkmcnt(0)
	v_mul_f64 v[6:7], v[10:11], v[4:5]
	v_fmac_f64_e32 v[6:7], v[8:9], v[2:3]
	v_mul_f64 v[2:3], v[10:11], v[2:3]
	v_fma_f64 v[2:3], v[8:9], v[4:5], -v[2:3]
	v_mul_f64 v[8:9], v[2:3], s[2:3]
	ds_read_b128 v[2:5], v240 offset:12288
	v_mad_u64_u32 v[10:11], s[6:7], s0, v15, v[12:13]
	v_mul_f64 v[6:7], v[6:7], s[2:3]
	v_add_u32_e32 v11, s4, v11
	global_store_dwordx4 v[10:11], v[6:9], off
	v_mad_u64_u32 v[10:11], s[6:7], s0, v14, v[10:11]
	s_waitcnt lgkmcnt(0)
	v_mul_f64 v[6:7], v[18:19], v[4:5]
	v_fmac_f64_e32 v[6:7], v[16:17], v[2:3]
	v_mul_f64 v[2:3], v[18:19], v[2:3]
	v_fma_f64 v[2:3], v[16:17], v[4:5], -v[2:3]
	scratch_load_dword v5, off, off offset:372 ; 4-byte Folded Reload
	scratch_load_dwordx4 v[16:19], off, off offset:52 ; 16-byte Folded Reload
	v_mul_f64 v[8:9], v[2:3], s[2:3]
	v_mul_f64 v[6:7], v[6:7], s[2:3]
	v_add_u32_e32 v11, s5, v11
	v_mov_b32_e32 v12, 0x1200
	s_waitcnt vmcnt(1)
	v_mad_u64_u32 v[2:3], s[6:7], s0, v5, 0
	v_mov_b32_e32 v4, v3
	v_mad_u64_u32 v[4:5], s[6:7], s1, v5, v[4:5]
	v_mov_b32_e32 v3, v4
	v_lshl_add_u64 v[2:3], v[2:3], 4, v[0:1]
	global_store_dwordx4 v[2:3], v[6:9], off
	ds_read_b128 v[2:5], v240 offset:16896
	s_waitcnt vmcnt(1) lgkmcnt(0)
	v_mul_f64 v[6:7], v[18:19], v[4:5]
	v_fmac_f64_e32 v[6:7], v[16:17], v[2:3]
	v_mul_f64 v[2:3], v[18:19], v[2:3]
	v_fma_f64 v[2:3], v[16:17], v[4:5], -v[2:3]
	scratch_load_dwordx4 v[16:19], off, off offset:116 ; 16-byte Folded Reload
	v_mul_f64 v[8:9], v[2:3], s[2:3]
	ds_read_b128 v[2:5], v240 offset:21504
	v_mul_f64 v[6:7], v[6:7], s[2:3]
	global_store_dwordx4 v[10:11], v[6:9], off
	v_mad_u64_u32 v[10:11], s[6:7], s0, v12, v[10:11]
	v_add_u32_e32 v11, s4, v11
	s_waitcnt vmcnt(1) lgkmcnt(0)
	v_mul_f64 v[6:7], v[18:19], v[4:5]
	v_fmac_f64_e32 v[6:7], v[16:17], v[2:3]
	v_mul_f64 v[2:3], v[18:19], v[2:3]
	v_fma_f64 v[2:3], v[16:17], v[4:5], -v[2:3]
	scratch_load_dwordx4 v[16:19], off, off offset:164 ; 16-byte Folded Reload
	v_mul_f64 v[8:9], v[2:3], s[2:3]
	ds_read_b128 v[2:5], v240 offset:26112
	v_mul_f64 v[6:7], v[6:7], s[2:3]
	global_store_dwordx4 v[10:11], v[6:9], off
	v_mad_u64_u32 v[10:11], s[6:7], s0, v12, v[10:11]
	v_add_u32_e32 v11, s4, v11
	v_mov_b32_e32 v12, 0x1200
	s_waitcnt vmcnt(1) lgkmcnt(0)
	v_mul_f64 v[6:7], v[18:19], v[4:5]
	v_fmac_f64_e32 v[6:7], v[16:17], v[2:3]
	v_mul_f64 v[2:3], v[18:19], v[2:3]
	v_fma_f64 v[2:3], v[16:17], v[4:5], -v[2:3]
	scratch_load_dwordx4 v[16:19], off, off offset:400 ; 16-byte Folded Reload
	v_mul_f64 v[8:9], v[2:3], s[2:3]
	ds_read_b128 v[2:5], v240 offset:30720
	v_mul_f64 v[6:7], v[6:7], s[2:3]
	global_store_dwordx4 v[10:11], v[6:9], off
	s_waitcnt vmcnt(1) lgkmcnt(0)
	s_nop 0
	v_mul_f64 v[6:7], v[18:19], v[4:5]
	v_fmac_f64_e32 v[6:7], v[16:17], v[2:3]
	v_mul_f64 v[2:3], v[18:19], v[2:3]
	v_fma_f64 v[2:3], v[16:17], v[4:5], -v[2:3]
	scratch_load_dword v5, off, off offset:296 ; 4-byte Folded Reload
	v_mul_f64 v[8:9], v[2:3], s[2:3]
	v_mul_f64 v[6:7], v[6:7], s[2:3]
	s_waitcnt vmcnt(0)
	v_mad_u64_u32 v[2:3], s[6:7], s0, v5, 0
	v_mov_b32_e32 v4, v3
	v_mad_u64_u32 v[4:5], s[6:7], s1, v5, v[4:5]
	v_mov_b32_e32 v3, v4
	v_lshl_add_u64 v[0:1], v[2:3], 4, v[0:1]
	global_store_dwordx4 v[0:1], v[6:9], off
	scratch_load_dwordx4 v[6:9], off, off offset:432 ; 16-byte Folded Reload
	ds_read_b128 v[0:3], v240 offset:35328
	s_waitcnt vmcnt(0) lgkmcnt(0)
	v_mul_f64 v[4:5], v[8:9], v[2:3]
	v_fmac_f64_e32 v[4:5], v[6:7], v[0:1]
	v_mul_f64 v[0:1], v[8:9], v[0:1]
	v_mad_u64_u32 v[8:9], s[6:7], s0, v14, v[10:11]
	scratch_load_dwordx4 v[14:17], off, off offset:356 ; 16-byte Folded Reload
	v_fma_f64 v[0:1], v[6:7], v[2:3], -v[0:1]
	v_mul_f64 v[6:7], v[0:1], s[2:3]
	ds_read_b128 v[0:3], v240 offset:39936
	v_mul_f64 v[4:5], v[4:5], s[2:3]
	v_add_u32_e32 v9, s5, v9
	global_store_dwordx4 v[8:9], v[4:7], off
	s_waitcnt vmcnt(1) lgkmcnt(0)
	s_nop 0
	v_mul_f64 v[4:5], v[16:17], v[2:3]
	v_fmac_f64_e32 v[4:5], v[14:15], v[0:1]
	v_mul_f64 v[0:1], v[16:17], v[0:1]
	v_fma_f64 v[0:1], v[14:15], v[2:3], -v[0:1]
	v_mul_f64 v[6:7], v[0:1], s[2:3]
	v_mad_u64_u32 v[0:1], s[6:7], s0, v12, v[8:9]
	scratch_load_dwordx4 v[8:11], off, off offset:36 ; 16-byte Folded Reload
	v_mul_f64 v[4:5], v[4:5], s[2:3]
	v_add_u32_e32 v1, s4, v1
	global_store_dwordx4 v[0:1], v[4:7], off
	ds_read_b128 v[2:5], v240 offset:44544
	v_mad_u64_u32 v[0:1], s[0:1], s0, v12, v[0:1]
	v_add_u32_e32 v1, s4, v1
	s_waitcnt vmcnt(1) lgkmcnt(0)
	v_mul_f64 v[6:7], v[10:11], v[4:5]
	v_fmac_f64_e32 v[6:7], v[8:9], v[2:3]
	v_mul_f64 v[2:3], v[10:11], v[2:3]
	v_fma_f64 v[2:3], v[8:9], v[4:5], -v[2:3]
	v_mul_f64 v[6:7], v[6:7], s[2:3]
	v_mul_f64 v[8:9], v[2:3], s[2:3]
	global_store_dwordx4 v[0:1], v[6:9], off
.LBB0_2:
	s_endpgm
	.section	.rodata,"a",@progbits
	.p2align	6, 0x0
	.amdhsa_kernel bluestein_single_fwd_len2880_dim1_dp_op_CI_CI
		.amdhsa_group_segment_fixed_size 46080
		.amdhsa_private_segment_fixed_size 716
		.amdhsa_kernarg_size 104
		.amdhsa_user_sgpr_count 2
		.amdhsa_user_sgpr_dispatch_ptr 0
		.amdhsa_user_sgpr_queue_ptr 0
		.amdhsa_user_sgpr_kernarg_segment_ptr 1
		.amdhsa_user_sgpr_dispatch_id 0
		.amdhsa_user_sgpr_kernarg_preload_length 0
		.amdhsa_user_sgpr_kernarg_preload_offset 0
		.amdhsa_user_sgpr_private_segment_size 0
		.amdhsa_uses_dynamic_stack 0
		.amdhsa_enable_private_segment 1
		.amdhsa_system_sgpr_workgroup_id_x 1
		.amdhsa_system_sgpr_workgroup_id_y 0
		.amdhsa_system_sgpr_workgroup_id_z 0
		.amdhsa_system_sgpr_workgroup_info 0
		.amdhsa_system_vgpr_workitem_id 0
		.amdhsa_next_free_vgpr 512
		.amdhsa_next_free_sgpr 40
		.amdhsa_accum_offset 256
		.amdhsa_reserve_vcc 1
		.amdhsa_float_round_mode_32 0
		.amdhsa_float_round_mode_16_64 0
		.amdhsa_float_denorm_mode_32 3
		.amdhsa_float_denorm_mode_16_64 3
		.amdhsa_dx10_clamp 1
		.amdhsa_ieee_mode 1
		.amdhsa_fp16_overflow 0
		.amdhsa_tg_split 0
		.amdhsa_exception_fp_ieee_invalid_op 0
		.amdhsa_exception_fp_denorm_src 0
		.amdhsa_exception_fp_ieee_div_zero 0
		.amdhsa_exception_fp_ieee_overflow 0
		.amdhsa_exception_fp_ieee_underflow 0
		.amdhsa_exception_fp_ieee_inexact 0
		.amdhsa_exception_int_div_zero 0
	.end_amdhsa_kernel
	.text
.Lfunc_end0:
	.size	bluestein_single_fwd_len2880_dim1_dp_op_CI_CI, .Lfunc_end0-bluestein_single_fwd_len2880_dim1_dp_op_CI_CI
                                        ; -- End function
	.section	.AMDGPU.csdata,"",@progbits
; Kernel info:
; codeLenInByte = 42012
; NumSgprs: 46
; NumVgprs: 256
; NumAgprs: 256
; TotalNumVgprs: 512
; ScratchSize: 716
; MemoryBound: 0
; FloatMode: 240
; IeeeMode: 1
; LDSByteSize: 46080 bytes/workgroup (compile time only)
; SGPRBlocks: 5
; VGPRBlocks: 63
; NumSGPRsForWavesPerEU: 46
; NumVGPRsForWavesPerEU: 512
; AccumOffset: 256
; Occupancy: 1
; WaveLimiterHint : 1
; COMPUTE_PGM_RSRC2:SCRATCH_EN: 1
; COMPUTE_PGM_RSRC2:USER_SGPR: 2
; COMPUTE_PGM_RSRC2:TRAP_HANDLER: 0
; COMPUTE_PGM_RSRC2:TGID_X_EN: 1
; COMPUTE_PGM_RSRC2:TGID_Y_EN: 0
; COMPUTE_PGM_RSRC2:TGID_Z_EN: 0
; COMPUTE_PGM_RSRC2:TIDIG_COMP_CNT: 0
; COMPUTE_PGM_RSRC3_GFX90A:ACCUM_OFFSET: 63
; COMPUTE_PGM_RSRC3_GFX90A:TG_SPLIT: 0
	.text
	.p2alignl 6, 3212836864
	.fill 256, 4, 3212836864
	.type	__hip_cuid_b10bb37df294127f,@object ; @__hip_cuid_b10bb37df294127f
	.section	.bss,"aw",@nobits
	.globl	__hip_cuid_b10bb37df294127f
__hip_cuid_b10bb37df294127f:
	.byte	0                               ; 0x0
	.size	__hip_cuid_b10bb37df294127f, 1

	.ident	"AMD clang version 19.0.0git (https://github.com/RadeonOpenCompute/llvm-project roc-6.4.0 25133 c7fe45cf4b819c5991fe208aaa96edf142730f1d)"
	.section	".note.GNU-stack","",@progbits
	.addrsig
	.addrsig_sym __hip_cuid_b10bb37df294127f
	.amdgpu_metadata
---
amdhsa.kernels:
  - .agpr_count:     256
    .args:
      - .actual_access:  read_only
        .address_space:  global
        .offset:         0
        .size:           8
        .value_kind:     global_buffer
      - .actual_access:  read_only
        .address_space:  global
        .offset:         8
        .size:           8
        .value_kind:     global_buffer
      - .actual_access:  read_only
        .address_space:  global
        .offset:         16
        .size:           8
        .value_kind:     global_buffer
      - .actual_access:  read_only
        .address_space:  global
        .offset:         24
        .size:           8
        .value_kind:     global_buffer
      - .actual_access:  read_only
        .address_space:  global
        .offset:         32
        .size:           8
        .value_kind:     global_buffer
      - .offset:         40
        .size:           8
        .value_kind:     by_value
      - .address_space:  global
        .offset:         48
        .size:           8
        .value_kind:     global_buffer
      - .address_space:  global
        .offset:         56
        .size:           8
        .value_kind:     global_buffer
      - .address_space:  global
        .offset:         64
        .size:           8
        .value_kind:     global_buffer
      - .address_space:  global
        .offset:         72
        .size:           8
        .value_kind:     global_buffer
      - .offset:         80
        .size:           4
        .value_kind:     by_value
      - .address_space:  global
        .offset:         88
        .size:           8
        .value_kind:     global_buffer
      - .address_space:  global
        .offset:         96
        .size:           8
        .value_kind:     global_buffer
    .group_segment_fixed_size: 46080
    .kernarg_segment_align: 8
    .kernarg_segment_size: 104
    .language:       OpenCL C
    .language_version:
      - 2
      - 0
    .max_flat_workgroup_size: 96
    .name:           bluestein_single_fwd_len2880_dim1_dp_op_CI_CI
    .private_segment_fixed_size: 716
    .sgpr_count:     46
    .sgpr_spill_count: 0
    .symbol:         bluestein_single_fwd_len2880_dim1_dp_op_CI_CI.kd
    .uniform_work_group_size: 1
    .uses_dynamic_stack: false
    .vgpr_count:     512
    .vgpr_spill_count: 178
    .wavefront_size: 64
amdhsa.target:   amdgcn-amd-amdhsa--gfx950
amdhsa.version:
  - 1
  - 2
...

	.end_amdgpu_metadata
